;; amdgpu-corpus repo=pytorch/pytorch kind=compiled arch=gfx1030 opt=O3
	.amdgcn_target "amdgcn-amd-amdhsa--gfx1030"
	.amdhsa_code_object_version 6
	.text
	.p2align	2                               ; -- Begin function _ZN2at6native25elementwise_kernel_helperILb0EZZZNS0_12_GLOBAL__N_121bessel_y1_kernel_cudaERNS_18TensorIteratorBaseEENKUlvE_clEvENKUlvE_clEvEUldE_NS0_6memory8policies11unroll_baseILi256ESt5arrayIPcLm2EE23TrivialOffsetCalculatorILi1EjESF_NS8_15LoadWithoutCastENS8_16StoreWithoutCastELi4ELi1EEEEEvT0_T1_
	.type	_ZN2at6native25elementwise_kernel_helperILb0EZZZNS0_12_GLOBAL__N_121bessel_y1_kernel_cudaERNS_18TensorIteratorBaseEENKUlvE_clEvENKUlvE_clEvEUldE_NS0_6memory8policies11unroll_baseILi256ESt5arrayIPcLm2EE23TrivialOffsetCalculatorILi1EjESF_NS8_15LoadWithoutCastENS8_16StoreWithoutCastELi4ELi1EEEEEvT0_T1_,@function
_ZN2at6native25elementwise_kernel_helperILb0EZZZNS0_12_GLOBAL__N_121bessel_y1_kernel_cudaERNS_18TensorIteratorBaseEENKUlvE_clEvENKUlvE_clEvEUldE_NS0_6memory8policies11unroll_baseILi256ESt5arrayIPcLm2EE23TrivialOffsetCalculatorILi1EjESF_NS8_15LoadWithoutCastENS8_16StoreWithoutCastELi4ELi1EEEEEvT0_T1_: ; @_ZN2at6native25elementwise_kernel_helperILb0EZZZNS0_12_GLOBAL__N_121bessel_y1_kernel_cudaERNS_18TensorIteratorBaseEENKUlvE_clEvENKUlvE_clEvEUldE_NS0_6memory8policies11unroll_baseILi256ESt5arrayIPcLm2EE23TrivialOffsetCalculatorILi1EjESF_NS8_15LoadWithoutCastENS8_16StoreWithoutCastELi4ELi1EEEEEvT0_T1_
; %bb.0:
	s_waitcnt vmcnt(0) expcnt(0) lgkmcnt(0)
	v_and_b32_e32 v34, 0x3ff, v31
	s_lshl_b32 s40, s12, 10
	v_mov_b32_e32 v16, 0
	v_mov_b32_e32 v18, 0
	;; [unrolled: 1-line block ×3, first 2 shown]
	v_cmp_lt_i32_e64 s4, v34, v4
	v_or_b32_e32 v5, s40, v34
	v_add_nc_u32_e32 v35, 0x100, v34
	v_mov_b32_e32 v19, 0
	v_mov_b32_e32 v10, v34
	s_and_saveexec_b32 s5, s4
	s_cbranch_execz .LBB0_2
; %bb.1:
	v_mov_b32_e32 v6, 0
	v_add_nc_u32_e32 v10, 0x100, v34
	v_lshlrev_b64 v[6:7], 3, v[5:6]
	v_add_co_u32 v6, vcc_lo, v2, v6
	v_add_co_ci_u32_e64 v7, null, v3, v7, vcc_lo
	flat_load_dwordx2 v[18:19], v[6:7]
.LBB0_2:
	s_or_b32 exec_lo, exec_lo, s5
	s_mov_b32 s5, exec_lo
	v_cmpx_lt_i32_e64 v10, v4
	s_cbranch_execz .LBB0_4
; %bb.3:
	v_add_nc_u32_e32 v6, s40, v10
	v_mov_b32_e32 v7, 0
	v_add_nc_u32_e32 v10, 0x100, v10
	v_lshlrev_b64 v[6:7], 3, v[6:7]
	v_add_co_u32 v6, vcc_lo, v2, v6
	v_add_co_ci_u32_e64 v7, null, v3, v7, vcc_lo
	flat_load_dwordx2 v[16:17], v[6:7]
.LBB0_4:
	s_or_b32 exec_lo, exec_lo, s5
	v_mov_b32_e32 v6, 0
	v_mov_b32_e32 v8, 0
	;; [unrolled: 1-line block ×4, first 2 shown]
	s_mov_b32 s5, exec_lo
	v_cmpx_lt_i32_e64 v10, v4
	s_cbranch_execz .LBB0_6
; %bb.5:
	v_add_nc_u32_e32 v8, s40, v10
	v_mov_b32_e32 v9, 0
	v_add_nc_u32_e32 v10, 0x100, v10
	v_lshlrev_b64 v[8:9], 3, v[8:9]
	v_add_co_u32 v8, vcc_lo, v2, v8
	v_add_co_ci_u32_e64 v9, null, v3, v9, vcc_lo
	flat_load_dwordx2 v[8:9], v[8:9]
.LBB0_6:
	s_or_b32 exec_lo, exec_lo, s5
	s_mov_b32 s5, exec_lo
	v_cmpx_lt_i32_e64 v10, v4
	s_cbranch_execz .LBB0_8
; %bb.7:
	v_add_nc_u32_e32 v6, s40, v10
	v_mov_b32_e32 v7, 0
	v_lshlrev_b64 v[6:7], 3, v[6:7]
	v_add_co_u32 v2, vcc_lo, v2, v6
	v_add_co_ci_u32_e64 v3, null, v3, v7, vcc_lo
	flat_load_dwordx2 v[6:7], v[2:3]
.LBB0_8:
	s_or_b32 exec_lo, exec_lo, s5
	v_mov_b32_e32 v2, 0
	v_mov_b32_e32 v3, v2
	;; [unrolled: 1-line block ×8, first 2 shown]
	s_and_saveexec_b32 s41, s4
	s_cbranch_execz .LBB0_26
; %bb.9:
                                        ; implicit-def: $vgpr2_vgpr3
	s_mov_b32 s5, exec_lo
	s_waitcnt vmcnt(0) lgkmcnt(0)
	v_cmpx_ge_f64_e32 0x40140000, v[18:19]
	s_xor_b32 s8, exec_lo, s5
	s_cbranch_execz .LBB0_15
; %bb.10:
	v_mov_b32_e32 v2, 0
	v_mov_b32_e32 v3, 0xfff00000
	s_mov_b32 s9, exec_lo
	v_cmpx_neq_f64_e32 0, v[18:19]
	s_cbranch_execz .LBB0_14
; %bb.11:
	v_mov_b32_e32 v2, 0
	v_mov_b32_e32 v3, 0x7ff80000
	s_mov_b32 s10, exec_lo
	v_cmpx_nge_f64_e32 0, v[18:19]
	s_cbranch_execz .LBB0_13
; %bb.12:
	v_frexp_mant_f64_e32 v[2:3], v[18:19]
	s_mov_b32 s7, 0x3fe55555
	s_mov_b32 s6, 0x55555555
	s_mov_b32 s12, 0x6b47b09a
	s_mov_b32 s14, 0xbf559e2b
	s_mov_b32 s13, 0x3fc38538
	s_mov_b32 s15, 0x3fc3ab76
	s_mov_b32 s16, 0xdc92a1b1
	s_mov_b32 s17, 0x4193e954
	v_frexp_exp_i32_f64_e32 v36, v[18:19]
	s_mov_b32 s18, 0xfefa39ef
	s_mov_b32 s19, 0x3fe62e42
	v_cmp_gt_f64_e32 vcc_lo, s[6:7], v[2:3]
	s_mov_b32 s6, 0x55555780
	v_cndmask_b32_e64 v10, 0, 1, vcc_lo
	v_ldexp_f64 v[2:3], v[2:3], v10
	v_add_f64 v[10:11], v[2:3], 1.0
	v_add_f64 v[20:21], v[2:3], -1.0
	v_rcp_f64_e32 v[12:13], v[10:11]
	v_add_f64 v[22:23], v[10:11], -1.0
	v_add_f64 v[2:3], v[2:3], -v[22:23]
	v_fma_f64 v[14:15], -v[10:11], v[12:13], 1.0
	v_fma_f64 v[12:13], v[14:15], v[12:13], v[12:13]
	v_fma_f64 v[14:15], -v[10:11], v[12:13], 1.0
	v_fma_f64 v[12:13], v[14:15], v[12:13], v[12:13]
	v_mul_f64 v[14:15], v[20:21], v[12:13]
	v_mul_f64 v[24:25], v[10:11], v[14:15]
	v_fma_f64 v[10:11], v[14:15], v[10:11], -v[24:25]
	v_fma_f64 v[2:3], v[14:15], v[2:3], v[10:11]
	v_add_f64 v[10:11], v[24:25], v[2:3]
	v_add_f64 v[22:23], v[20:21], -v[10:11]
	v_add_f64 v[24:25], v[10:11], -v[24:25]
	;; [unrolled: 1-line block ×5, first 2 shown]
	v_add_f64 v[2:3], v[2:3], v[10:11]
	v_add_f64 v[2:3], v[22:23], v[2:3]
	v_mul_f64 v[22:23], v[18:19], v[18:19]
	v_mul_f64 v[2:3], v[12:13], v[2:3]
	v_add_f64 v[10:11], v[14:15], v[2:3]
	v_mul_f64 v[12:13], v[10:11], v[10:11]
	v_ldexp_f64 v[32:33], v[10:11], 1
	v_fma_f64 v[20:21], v[12:13], s[14:15], s[12:13]
	s_mov_b32 s12, 0xd7f4df2e
	s_mov_b32 s13, 0x3fc7474d
	;; [unrolled: 1-line block ×4, first 2 shown]
	v_mul_f64 v[30:31], v[10:11], v[12:13]
	v_fma_f64 v[26:27], v[22:23], 0, s[14:15]
	s_mov_b32 s14, 0xdd701b2
	s_mov_b32 s15, 0x410f5eda
	v_add_f64 v[10:11], v[10:11], -v[14:15]
	v_fma_f64 v[20:21], v[12:13], v[20:21], s[12:13]
	s_mov_b32 s12, 0xa93f7ac2
	s_mov_b32 s13, 0x40829269
	v_fma_f64 v[24:25], v[22:23], 0, s[12:13]
	s_mov_b32 s12, 0x16291751
	s_mov_b32 s13, 0x3fcc71c0
	v_fma_f64 v[26:27], v[22:23], v[26:27], s[14:15]
	s_mov_b32 s14, 0xa9c8acee
	s_mov_b32 s15, 0x419184ef
	v_add_f64 v[2:3], v[2:3], -v[10:11]
	v_fma_f64 v[20:21], v[12:13], v[20:21], s[12:13]
	s_mov_b32 s12, 0xbe58ef7f
	s_mov_b32 s13, 0x410cc160
	v_fma_f64 v[24:25], v[22:23], v[24:25], s[12:13]
	s_mov_b32 s12, 0x9b27acf1
	s_mov_b32 s13, 0x3fd24924
	;; [unrolled: 3-line block ×3, first 2 shown]
	v_ldexp_f64 v[2:3], v[2:3], 1
	v_fma_f64 v[20:21], v[12:13], v[20:21], s[12:13]
	s_mov_b32 s12, 0x62f9b6c5
	s_mov_b32 s13, 0x41d2d2be
	v_fma_f64 v[28:29], v[22:23], 0, s[12:13]
	v_fma_f64 v[24:25], v[22:23], v[24:25], s[14:15]
	s_mov_b32 s12, 0x998ef7b6
	s_mov_b32 s13, 0x3fd99999
	s_mov_b32 s14, 0x906b7b83
	s_mov_b32 s15, 0x421178c3
	v_fma_f64 v[26:27], v[22:23], v[26:27], s[16:17]
	s_mov_b32 s16, 0x8076ffa8
	s_mov_b32 s17, 0x429146fb
	v_fma_f64 v[20:21], v[12:13], v[20:21], s[12:13]
	s_mov_b32 s12, 0x58836521
	s_mov_b32 s13, 0xc262d72d
	v_fma_f64 v[28:29], v[22:23], v[28:29], s[12:13]
	v_fma_f64 v[24:25], v[22:23], v[24:25], s[14:15]
	s_mov_b32 s12, 0xfda99316
	s_mov_b32 s14, 0x4cda4fc5
	;; [unrolled: 1-line block ×4, first 2 shown]
	v_fma_f64 v[26:27], v[22:23], v[26:27], s[16:17]
	s_mov_b32 s16, 0x3eccf45f
	s_mov_b32 s17, 0x43064b0a
	v_fma_f64 v[12:13], v[12:13], v[20:21], s[6:7]
	s_mov_b32 s6, 0xb0910fef
	s_mov_b32 s7, 0x42da0954
	v_fma_f64 v[20:21], v[22:23], v[28:29], s[6:7]
	v_fma_f64 v[24:25], v[22:23], v[24:25], s[12:13]
	;; [unrolled: 1-line block ×3, first 2 shown]
	s_mov_b32 s6, 0x37a1b083
	s_mov_b32 s12, 0xd71d1e4e
	;; [unrolled: 1-line block ×6, first 2 shown]
	v_fma_f64 v[26:27], v[22:23], v[26:27], s[16:17]
	s_mov_b32 s16, 0xf4653f81
	s_mov_b32 s17, 0x4373e0bf
	v_mul_f64 v[12:13], v[30:31], v[12:13]
	v_subrev_co_ci_u32_e64 v30, null, 0, v36, vcc_lo
	v_fma_f64 v[20:21], v[22:23], v[20:21], s[6:7]
	v_fma_f64 v[24:25], v[22:23], v[24:25], s[12:13]
	;; [unrolled: 1-line block ×3, first 2 shown]
	v_cvt_f64_i32_e32 v[30:31], v30
	s_mov_b32 s6, 0xb7366b1
	s_mov_b32 s12, 0xc547a488
	;; [unrolled: 1-line block ×6, first 2 shown]
	v_fma_f64 v[26:27], v[22:23], v[26:27], s[16:17]
	s_mov_b32 s16, 0xa697c482
	s_mov_b32 s17, 0x432a2b42
	v_add_f64 v[14:15], v[32:33], v[12:13]
	v_fma_f64 v[20:21], v[22:23], v[20:21], s[6:7]
	v_fma_f64 v[24:25], v[22:23], v[24:25], s[12:13]
	v_fma_f64 v[28:29], v[22:23], v[28:29], s[14:15]
	v_mul_f64 v[36:37], v[30:31], s[18:19]
	s_mov_b32 s6, 0x90f6747f
	s_mov_b32 s12, 0x5dde2b17
	;; [unrolled: 1-line block ×6, first 2 shown]
	v_add_f64 v[10:11], v[14:15], -v[32:33]
	v_fma_f64 v[20:21], v[22:23], v[20:21], s[12:13]
	v_fma_f64 v[24:25], v[22:23], v[24:25], s[6:7]
	;; [unrolled: 1-line block ×4, first 2 shown]
	v_fma_f64 v[26:27], v[30:31], s[18:19], -v[36:37]
	s_mov_b32 s6, 0x3b39803f
	s_mov_b32 s7, 0x3c7abc9e
	v_add_f64 v[10:11], v[12:13], -v[10:11]
	v_div_scale_f64 v[12:13], null, v[24:25], v[24:25], v[20:21]
	v_div_scale_f64 v[32:33], null, v[22:23], v[22:23], v[28:29]
	v_fma_f64 v[26:27], v[30:31], s[6:7], v[26:27]
	s_mov_b32 s6, 0x4189822c
	s_mov_b32 s7, 0xc02d5d2b
	v_add_f64 v[2:3], v[2:3], v[10:11]
	v_rcp_f64_e32 v[10:11], v[12:13]
	v_rcp_f64_e32 v[30:31], v[32:33]
	v_add_f64 v[38:39], v[36:37], v[26:27]
	v_add_f64 v[48:49], v[14:15], v[2:3]
	v_fma_f64 v[50:51], -v[12:13], v[10:11], 1.0
	v_fma_f64 v[52:53], -v[32:33], v[30:31], 1.0
	v_add_f64 v[36:37], v[38:39], -v[36:37]
	v_add_f64 v[54:55], v[38:39], v[48:49]
	v_add_f64 v[14:15], v[48:49], -v[14:15]
	v_fma_f64 v[10:11], v[10:11], v[50:51], v[10:11]
	v_fma_f64 v[30:31], v[30:31], v[52:53], v[30:31]
	v_div_scale_f64 v[52:53], null, v[18:19], v[18:19], -1.0
	v_add_f64 v[26:27], v[26:27], -v[36:37]
	v_div_scale_f64 v[36:37], vcc_lo, v[20:21], v[24:25], v[20:21]
	v_add_f64 v[50:51], v[54:55], -v[38:39]
	v_add_f64 v[2:3], v[2:3], -v[14:15]
	v_fma_f64 v[64:65], -v[12:13], v[10:11], 1.0
	v_fma_f64 v[66:67], -v[32:33], v[30:31], 1.0
	v_rcp_f64_e32 v[70:71], v[52:53]
	v_add_f64 v[68:69], v[54:55], -v[50:51]
	v_add_f64 v[14:15], v[48:49], -v[50:51]
	v_fma_f64 v[10:11], v[10:11], v[64:65], v[10:11]
	v_div_scale_f64 v[64:65], s5, v[28:29], v[22:23], v[28:29]
	v_fma_f64 v[30:31], v[30:31], v[66:67], v[30:31]
	v_fma_f64 v[48:49], -v[52:53], v[70:71], 1.0
	v_add_f64 v[38:39], v[38:39], -v[68:69]
	v_add_f64 v[68:69], v[26:27], v[2:3]
	v_mul_f64 v[50:51], v[36:37], v[10:11]
	v_mul_f64 v[66:67], v[64:65], v[30:31]
	v_add_f64 v[14:15], v[14:15], v[38:39]
	v_fma_f64 v[38:39], v[70:71], v[48:49], v[70:71]
	v_fma_f64 v[12:13], -v[12:13], v[50:51], v[36:37]
	v_add_f64 v[36:37], v[68:69], -v[26:27]
	v_fma_f64 v[32:33], -v[32:33], v[66:67], v[64:65]
	v_add_f64 v[14:15], v[68:69], v[14:15]
	v_fma_f64 v[48:49], -v[52:53], v[38:39], 1.0
	v_div_fmas_f64 v[10:11], v[12:13], v[10:11], v[50:51]
	s_mov_b32 vcc_lo, s5
	v_add_f64 v[2:3], v[2:3], -v[36:37]
	v_div_fmas_f64 v[12:13], v[32:33], v[30:31], v[66:67]
	v_add_f64 v[30:31], v[68:69], -v[36:37]
	v_div_scale_f64 v[50:51], vcc_lo, -1.0, v[18:19], -1.0
	v_add_f64 v[32:33], v[54:55], v[14:15]
	v_fma_f64 v[38:39], v[38:39], v[48:49], v[38:39]
	v_div_fixup_f64 v[10:11], v[10:11], v[24:25], v[20:21]
	v_div_fixup_f64 v[12:13], v[12:13], v[22:23], v[28:29]
	v_add_f64 v[22:23], v[26:27], -v[30:31]
	v_fma_f64 v[30:31], v[18:19], v[18:19], s[6:7]
	s_mov_b32 s6, 0x6072a432
	s_mov_b32 s7, 0xc0489bf6
	v_add_f64 v[26:27], v[32:33], -v[54:55]
	v_mul_f64 v[28:29], v[50:51], v[38:39]
	v_mul_f64 v[12:13], v[18:19], v[12:13]
	v_add_f64 v[2:3], v[2:3], v[22:23]
	v_add_f64 v[14:15], v[14:15], -v[26:27]
	v_fma_f64 v[22:23], -v[52:53], v[28:29], v[50:51]
	v_fma_f64 v[26:27], v[18:19], v[18:19], s[6:7]
	s_mov_b32 s6, 0x6dc9c883
	s_mov_b32 s7, 0x3fe45f30
	v_mul_f64 v[12:13], v[30:31], v[12:13]
	v_add_f64 v[2:3], v[2:3], v[14:15]
	v_div_fmas_f64 v[14:15], v[22:23], v[38:39], v[28:29]
	v_mul_f64 v[12:13], v[26:27], v[12:13]
	v_add_f64 v[2:3], v[32:33], v[2:3]
	v_div_fixup_f64 v[14:15], v[14:15], v[18:19], -1.0
	v_fma_f64 v[2:3], v[12:13], v[2:3], v[14:15]
	v_mul_f64 v[2:3], v[2:3], s[6:7]
	v_fma_f64 v[2:3], v[18:19], v[10:11], v[2:3]
.LBB0_13:
	s_or_b32 exec_lo, exec_lo, s10
.LBB0_14:
	s_or_b32 exec_lo, exec_lo, s9
                                        ; implicit-def: $vgpr18_vgpr19
.LBB0_15:
	s_andn2_saveexec_b32 s42, s8
	s_cbranch_execz .LBB0_25
; %bb.16:
	s_mov_b32 s6, 0x7f3321d2
	s_mov_b32 s7, 0xc002d97c
                                        ; implicit-def: $vgpr30
                                        ; implicit-def: $vgpr10_vgpr11
                                        ; implicit-def: $vgpr12_vgpr13
	v_add_f64 v[2:3], v[18:19], s[6:7]
	v_cmp_ngt_f64_e64 s5, 0x41d00000, |v[2:3]|
	v_trig_preop_f64 v[26:27], |v[2:3]|, 0
	v_trig_preop_f64 v[24:25], |v[2:3]|, 1
	v_ldexp_f64 v[28:29], |v[2:3]|, 0xffffff80
	v_trig_preop_f64 v[22:23], |v[2:3]|, 2
	v_and_b32_e32 v32, 0x7fffffff, v3
	s_and_saveexec_b32 s6, s5
	s_xor_b32 s6, exec_lo, s6
	s_cbranch_execz .LBB0_18
; %bb.17:
	v_cmp_le_f64_e64 vcc_lo, 0x7b000000, |v[2:3]|
	v_mov_b32_e32 v54, 0
	s_mov_b32 s8, 0x54442d18
	s_mov_b32 s9, 0x3ff921fb
	;; [unrolled: 1-line block ×4, first 2 shown]
	v_cndmask_b32_e32 v11, v32, v29, vcc_lo
	v_cndmask_b32_e32 v10, v2, v28, vcc_lo
	v_mul_f64 v[12:13], v[26:27], v[10:11]
	v_mul_f64 v[14:15], v[24:25], v[10:11]
	;; [unrolled: 1-line block ×3, first 2 shown]
	v_fma_f64 v[20:21], v[26:27], v[10:11], -v[12:13]
	v_fma_f64 v[52:53], v[24:25], v[10:11], -v[14:15]
	;; [unrolled: 1-line block ×3, first 2 shown]
	v_add_f64 v[30:31], v[14:15], v[20:21]
	v_add_f64 v[36:37], v[30:31], -v[14:15]
	v_add_f64 v[48:49], v[12:13], v[30:31]
	v_add_f64 v[38:39], v[30:31], -v[36:37]
	v_add_f64 v[20:21], v[20:21], -v[36:37]
	v_ldexp_f64 v[36:37], v[48:49], -2
	v_add_f64 v[12:13], v[48:49], -v[12:13]
	v_add_f64 v[14:15], v[14:15], -v[38:39]
	v_add_f64 v[38:39], v[50:51], v[52:53]
	v_cmp_neq_f64_e64 vcc_lo, 0x7ff00000, |v[36:37]|
	v_add_f64 v[12:13], v[30:31], -v[12:13]
	v_add_f64 v[14:15], v[20:21], v[14:15]
	v_fract_f64_e32 v[20:21], v[36:37]
	v_add_f64 v[30:31], v[38:39], v[14:15]
	v_ldexp_f64 v[20:21], v[20:21], 2
	v_add_f64 v[36:37], v[12:13], v[30:31]
	v_cndmask_b32_e32 v21, 0, v21, vcc_lo
	v_cndmask_b32_e32 v20, 0, v20, vcc_lo
	v_add_f64 v[64:65], v[30:31], -v[38:39]
	v_add_f64 v[48:49], v[36:37], v[20:21]
	v_add_f64 v[12:13], v[36:37], -v[12:13]
	v_add_f64 v[70:71], v[30:31], -v[64:65]
	;; [unrolled: 1-line block ×3, first 2 shown]
	v_cmp_gt_f64_e32 vcc_lo, 0, v[48:49]
	v_add_f64 v[48:49], v[38:39], -v[50:51]
	v_add_f64 v[12:13], v[30:31], -v[12:13]
	v_cndmask_b32_e64 v55, 0, 0x40100000, vcc_lo
	v_add_f64 v[68:69], v[38:39], -v[48:49]
	v_add_f64 v[48:49], v[52:53], -v[48:49]
	;; [unrolled: 1-line block ×3, first 2 shown]
	v_add_f64 v[20:21], v[20:21], v[54:55]
	v_add_f64 v[52:53], v[50:51], -v[68:69]
	v_add_f64 v[14:15], v[14:15], v[38:39]
	v_add_f64 v[66:67], v[36:37], v[20:21]
	;; [unrolled: 1-line block ×3, first 2 shown]
	v_cvt_i32_f64_e32 v33, v[66:67]
	v_add_f64 v[14:15], v[48:49], v[14:15]
	v_cvt_f64_i32_e32 v[64:65], v33
	v_add_f64 v[10:11], v[10:11], v[14:15]
	v_add_f64 v[20:21], v[20:21], -v[64:65]
	v_add_f64 v[10:11], v[12:13], v[10:11]
	v_add_f64 v[38:39], v[36:37], v[20:21]
	v_add_f64 v[14:15], v[38:39], -v[20:21]
	v_cmp_le_f64_e32 vcc_lo, 0.5, v[38:39]
	v_add_f64 v[12:13], v[36:37], -v[14:15]
	v_cndmask_b32_e64 v55, 0, 0x3ff00000, vcc_lo
	v_add_co_ci_u32_e64 v30, null, 0, v33, vcc_lo
	v_add_f64 v[10:11], v[10:11], v[12:13]
	v_add_f64 v[12:13], v[38:39], -v[54:55]
	v_add_f64 v[14:15], v[12:13], v[10:11]
	v_mul_f64 v[20:21], v[14:15], s[8:9]
	v_add_f64 v[12:13], v[14:15], -v[12:13]
	v_fma_f64 v[36:37], v[14:15], s[8:9], -v[20:21]
	v_add_f64 v[10:11], v[10:11], -v[12:13]
	v_fma_f64 v[12:13], v[14:15], s[10:11], v[36:37]
	v_fma_f64 v[12:13], v[10:11], s[8:9], v[12:13]
	v_add_f64 v[10:11], v[20:21], v[12:13]
	v_add_f64 v[14:15], v[10:11], -v[20:21]
	v_add_f64 v[12:13], v[12:13], -v[14:15]
	s_andn2_saveexec_b32 s6, s6
	s_cbranch_execz .LBB0_20
	s_branch .LBB0_19
.LBB0_18:
	s_andn2_saveexec_b32 s6, s6
	s_cbranch_execz .LBB0_20
.LBB0_19:
	s_mov_b32 s8, 0x6dc9c883
	s_mov_b32 s9, 0x3fe45f30
	;; [unrolled: 1-line block ×3, first 2 shown]
	v_mul_f64 v[10:11], |v[2:3]|, s[8:9]
	s_mov_b32 s8, 0x54442d18
	s_mov_b32 s9, 0xbff921fb
	;; [unrolled: 1-line block ×3, first 2 shown]
	v_rndne_f64_e32 v[14:15], v[10:11]
	v_fma_f64 v[10:11], v[14:15], s[8:9], |v[2:3]|
	v_mul_f64 v[12:13], v[14:15], s[10:11]
	s_mov_b32 s8, 0x252049c0
	s_mov_b32 s9, 0xb97b839a
	v_fma_f64 v[30:31], v[14:15], s[10:11], v[10:11]
	v_add_f64 v[20:21], v[10:11], v[12:13]
	s_mov_b32 s11, 0x3c91a626
	v_add_f64 v[10:11], v[10:11], -v[20:21]
	v_add_f64 v[20:21], v[20:21], -v[30:31]
	v_add_f64 v[10:11], v[10:11], v[12:13]
	v_fma_f64 v[12:13], v[14:15], s[10:11], v[12:13]
	v_add_f64 v[10:11], v[20:21], v[10:11]
	v_add_f64 v[10:11], v[10:11], -v[12:13]
	v_fma_f64 v[12:13], v[14:15], s[8:9], v[10:11]
	v_add_f64 v[10:11], v[30:31], v[12:13]
	v_add_f64 v[20:21], v[10:11], -v[30:31]
	v_cvt_i32_f64_e32 v30, v[14:15]
	v_add_f64 v[12:13], v[12:13], -v[20:21]
.LBB0_20:
	s_or_b32 exec_lo, exec_lo, s6
                                        ; implicit-def: $vgpr31
                                        ; implicit-def: $vgpr14_vgpr15
                                        ; implicit-def: $vgpr20_vgpr21
	s_and_saveexec_b32 s6, s5
	s_xor_b32 s5, exec_lo, s6
	s_cbranch_execz .LBB0_22
; %bb.21:
	v_cmp_le_f64_e64 vcc_lo, 0x7b000000, |v[2:3]|
	v_mov_b32_e32 v52, 0
	s_mov_b32 s6, 0x54442d18
	s_mov_b32 s7, 0x3ff921fb
	;; [unrolled: 1-line block ×4, first 2 shown]
	v_cndmask_b32_e32 v15, v32, v29, vcc_lo
	v_cndmask_b32_e32 v14, v2, v28, vcc_lo
	v_mul_f64 v[20:21], v[26:27], v[14:15]
	v_mul_f64 v[28:29], v[24:25], v[14:15]
	;; [unrolled: 1-line block ×3, first 2 shown]
	v_fma_f64 v[26:27], v[26:27], v[14:15], -v[20:21]
	v_fma_f64 v[24:25], v[24:25], v[14:15], -v[28:29]
	v_fma_f64 v[14:15], v[22:23], v[14:15], -v[50:51]
	v_add_f64 v[31:32], v[28:29], v[26:27]
	v_add_f64 v[36:37], v[31:32], -v[28:29]
	v_add_f64 v[48:49], v[20:21], v[31:32]
	v_add_f64 v[38:39], v[31:32], -v[36:37]
	v_add_f64 v[26:27], v[26:27], -v[36:37]
	v_ldexp_f64 v[36:37], v[48:49], -2
	v_add_f64 v[20:21], v[48:49], -v[20:21]
	v_add_f64 v[28:29], v[28:29], -v[38:39]
	v_add_f64 v[38:39], v[50:51], v[24:25]
	v_cmp_neq_f64_e64 vcc_lo, 0x7ff00000, |v[36:37]|
	v_add_f64 v[20:21], v[31:32], -v[20:21]
	v_add_f64 v[26:27], v[26:27], v[28:29]
	v_fract_f64_e32 v[28:29], v[36:37]
	v_add_f64 v[31:32], v[38:39], v[26:27]
	v_ldexp_f64 v[28:29], v[28:29], 2
	v_add_f64 v[36:37], v[20:21], v[31:32]
	v_cndmask_b32_e32 v29, 0, v29, vcc_lo
	v_cndmask_b32_e32 v28, 0, v28, vcc_lo
	v_add_f64 v[48:49], v[36:37], v[28:29]
	v_add_f64 v[20:21], v[36:37], -v[20:21]
	v_cmp_gt_f64_e32 vcc_lo, 0, v[48:49]
	v_add_f64 v[48:49], v[38:39], -v[50:51]
	v_add_f64 v[20:21], v[31:32], -v[20:21]
	v_cndmask_b32_e64 v53, 0, 0x40100000, vcc_lo
	v_add_f64 v[66:67], v[38:39], -v[48:49]
	v_add_f64 v[24:25], v[24:25], -v[48:49]
	v_add_f64 v[28:29], v[28:29], v[52:53]
	v_add_f64 v[53:54], v[31:32], -v[38:39]
	v_add_f64 v[48:49], v[50:51], -v[66:67]
	v_add_f64 v[64:65], v[36:37], v[28:29]
	;; [unrolled: 3-line block ×3, first 2 shown]
	v_cvt_i32_f64_e32 v33, v[64:65]
	v_add_f64 v[38:39], v[38:39], -v[68:69]
	v_cvt_f64_i32_e32 v[53:54], v33
	v_add_f64 v[26:27], v[26:27], v[38:39]
	v_add_f64 v[28:29], v[28:29], -v[53:54]
	v_add_f64 v[22:23], v[24:25], v[26:27]
	v_add_f64 v[24:25], v[36:37], v[28:29]
	;; [unrolled: 1-line block ×3, first 2 shown]
	v_add_f64 v[22:23], v[24:25], -v[28:29]
	v_cmp_le_f64_e32 vcc_lo, 0.5, v[24:25]
	v_add_f64 v[14:15], v[20:21], v[14:15]
	v_add_f64 v[20:21], v[36:37], -v[22:23]
	v_cndmask_b32_e64 v53, 0, 0x3ff00000, vcc_lo
	v_add_co_ci_u32_e64 v31, null, 0, v33, vcc_lo
	v_add_f64 v[14:15], v[14:15], v[20:21]
	v_add_f64 v[20:21], v[24:25], -v[52:53]
	v_add_f64 v[22:23], v[20:21], v[14:15]
	v_mul_f64 v[24:25], v[22:23], s[6:7]
	v_add_f64 v[20:21], v[22:23], -v[20:21]
	v_fma_f64 v[26:27], v[22:23], s[6:7], -v[24:25]
	v_add_f64 v[14:15], v[14:15], -v[20:21]
	v_fma_f64 v[20:21], v[22:23], s[8:9], v[26:27]
	v_fma_f64 v[20:21], v[14:15], s[6:7], v[20:21]
	v_add_f64 v[14:15], v[24:25], v[20:21]
	v_add_f64 v[22:23], v[14:15], -v[24:25]
	v_add_f64 v[20:21], v[20:21], -v[22:23]
	s_andn2_saveexec_b32 s5, s5
	s_cbranch_execnz .LBB0_23
	s_branch .LBB0_24
.LBB0_22:
	s_andn2_saveexec_b32 s5, s5
	s_cbranch_execz .LBB0_24
.LBB0_23:
	s_mov_b32 s6, 0x6dc9c883
	s_mov_b32 s7, 0x3fe45f30
	;; [unrolled: 1-line block ×3, first 2 shown]
	v_mul_f64 v[14:15], |v[2:3]|, s[6:7]
	s_mov_b32 s6, 0x54442d18
	s_mov_b32 s7, 0xbff921fb
	;; [unrolled: 1-line block ×3, first 2 shown]
	v_rndne_f64_e32 v[22:23], v[14:15]
	v_fma_f64 v[14:15], v[22:23], s[6:7], |v[2:3]|
	v_mul_f64 v[20:21], v[22:23], s[8:9]
	s_mov_b32 s6, 0x252049c0
	s_mov_b32 s7, 0xb97b839a
	v_cvt_i32_f64_e32 v31, v[22:23]
	v_fma_f64 v[26:27], v[22:23], s[8:9], v[14:15]
	v_add_f64 v[24:25], v[14:15], v[20:21]
	s_mov_b32 s9, 0x3c91a626
	v_add_f64 v[14:15], v[14:15], -v[24:25]
	v_add_f64 v[24:25], v[24:25], -v[26:27]
	v_add_f64 v[14:15], v[14:15], v[20:21]
	v_fma_f64 v[20:21], v[22:23], s[8:9], v[20:21]
	v_add_f64 v[14:15], v[24:25], v[14:15]
	v_add_f64 v[14:15], v[14:15], -v[20:21]
	v_fma_f64 v[20:21], v[22:23], s[6:7], v[14:15]
	v_add_f64 v[14:15], v[26:27], v[20:21]
	v_add_f64 v[24:25], v[14:15], -v[26:27]
	v_add_f64 v[20:21], v[20:21], -v[24:25]
.LBB0_24:
	s_or_b32 exec_lo, exec_lo, s5
	v_div_scale_f64 v[22:23], null, v[18:19], v[18:19], 0x40140000
	s_mov_b32 s6, 0x4c6c651b
	s_mov_b32 s7, 0x3f48f92c
	;; [unrolled: 1-line block ×20, first 2 shown]
	v_rcp_f64_e32 v[24:25], v[22:23]
	s_mov_b32 s26, 0x11110bb3
	s_mov_b32 s27, 0x3f811111
	;; [unrolled: 1-line block ×4, first 2 shown]
	v_cmp_class_f64_e64 s5, v[2:3], 0x1f8
	v_fma_f64 v[26:27], -v[22:23], v[24:25], 1.0
	v_fma_f64 v[24:25], v[24:25], v[26:27], v[24:25]
	v_fma_f64 v[26:27], -v[22:23], v[24:25], 1.0
	v_fma_f64 v[24:25], v[24:25], v[26:27], v[24:25]
	v_div_scale_f64 v[26:27], vcc_lo, 0x40140000, v[18:19], 0x40140000
	v_mul_f64 v[28:29], v[26:27], v[24:25]
	v_fma_f64 v[22:23], -v[22:23], v[28:29], v[26:27]
	v_div_fmas_f64 v[22:23], v[22:23], v[24:25], v[28:29]
	v_div_fixup_f64 v[22:23], v[22:23], v[18:19], 0x40140000
	v_mul_f64 v[24:25], v[22:23], v[22:23]
	v_fma_f64 v[26:27], v[24:25], 0, s[6:7]
	s_mov_b32 s6, 0xa3fec4b6
	s_mov_b32 s7, 0x3fb2b948
	v_fma_f64 v[26:27], v[24:25], v[26:27], s[6:7]
	s_mov_b32 s6, 0xc21596d6
	s_mov_b32 s7, 0x3ff208fe
	;; [unrolled: 3-line block ×13, first 2 shown]
	v_fma_f64 v[28:29], v[24:25], v[28:29], 1.0
	v_fma_f64 v[32:33], v[24:25], v[32:33], s[6:7]
	s_mov_b32 s6, 0x9acf1c67
	s_mov_b32 s7, 0x4052f4b9
	v_fma_f64 v[32:33], v[24:25], v[32:33], s[6:7]
	s_mov_b32 s6, 0x47aa180d
	s_mov_b32 s7, 0x4076ec79
	;; [unrolled: 3-line block ×13, first 2 shown]
	v_fma_f64 v[36:37], v[24:25], v[36:37], s[6:7]
	v_fma_f64 v[24:25], v[24:25], v[26:27], 1.0
	s_mov_b32 s6, 0x9037ab78
	s_mov_b32 s7, 0x3e21eeb6
	v_div_scale_f64 v[26:27], null, v[28:29], v[28:29], v[24:25]
	v_rcp_f64_e32 v[38:39], v[26:27]
	v_fma_f64 v[48:49], -v[26:27], v[38:39], 1.0
	v_fma_f64 v[38:39], v[38:39], v[48:49], v[38:39]
	v_fma_f64 v[48:49], -v[26:27], v[38:39], 1.0
	v_fma_f64 v[38:39], v[38:39], v[48:49], v[38:39]
	v_div_scale_f64 v[48:49], vcc_lo, v[24:25], v[28:29], v[24:25]
	v_mul_f64 v[50:51], v[48:49], v[38:39]
	v_fma_f64 v[26:27], -v[26:27], v[50:51], v[48:49]
	v_div_fmas_f64 v[26:27], v[26:27], v[38:39], v[50:51]
	v_div_fixup_f64 v[24:25], v[26:27], v[28:29], v[24:25]
	v_mul_f64 v[26:27], v[10:11], v[10:11]
	v_mul_f64 v[28:29], v[26:27], 0.5
	v_fma_f64 v[50:51], v[26:27], s[8:9], s[6:7]
	v_add_f64 v[38:39], -v[28:29], 1.0
	v_fma_f64 v[50:51], v[26:27], v[50:51], s[10:11]
	v_add_f64 v[48:49], -v[38:39], 1.0
	v_fma_f64 v[50:51], v[26:27], v[50:51], s[16:17]
	v_add_f64 v[28:29], v[48:49], -v[28:29]
	v_fma_f64 v[50:51], v[26:27], v[50:51], s[18:19]
	v_mul_f64 v[48:49], v[26:27], v[26:27]
	v_fma_f64 v[28:29], v[10:11], -v[12:13], v[28:29]
	v_fma_f64 v[50:51], v[26:27], v[50:51], s[20:21]
	v_fma_f64 v[28:29], v[48:49], v[50:51], v[28:29]
	v_mul_f64 v[48:49], v[10:11], -v[26:27]
	v_mul_f64 v[50:51], v[12:13], 0.5
	v_add_f64 v[28:29], v[38:39], v[28:29]
	v_fma_f64 v[38:39], v[26:27], s[14:15], s[12:13]
	v_fma_f64 v[38:39], v[26:27], v[38:39], s[22:23]
	;; [unrolled: 1-line block ×5, first 2 shown]
	v_fma_f64 v[12:13], v[26:27], v[38:39], -v[12:13]
	v_fma_f64 v[12:13], v[48:49], s[28:29], v[12:13]
	v_add_f64 v[10:11], v[10:11], -v[12:13]
	v_and_b32_e32 v12, 1, v30
	v_cmp_eq_u32_e32 vcc_lo, 0, v12
	v_lshlrev_b32_e32 v12, 30, v30
	v_xor_b32_e32 v12, v12, v3
	v_and_b32_e32 v12, 0x80000000, v12
	v_cndmask_b32_e32 v11, v29, v11, vcc_lo
	v_cndmask_b32_e32 v10, v28, v10, vcc_lo
	v_xor_b32_e32 v11, v11, v12
	v_cndmask_b32_e64 v2, 0, v10, s5
	v_cndmask_b32_e64 v3, 0x7ff80000, v11, s5
	v_div_scale_f64 v[10:11], null, v[36:37], v[36:37], v[32:33]
	v_rcp_f64_e32 v[12:13], v[10:11]
	v_fma_f64 v[26:27], -v[10:11], v[12:13], 1.0
	v_fma_f64 v[12:13], v[12:13], v[26:27], v[12:13]
	v_fma_f64 v[26:27], -v[10:11], v[12:13], 1.0
	v_fma_f64 v[12:13], v[12:13], v[26:27], v[12:13]
	v_div_scale_f64 v[26:27], vcc_lo, v[32:33], v[36:37], v[32:33]
	v_mul_f64 v[28:29], v[26:27], v[12:13]
	v_fma_f64 v[10:11], -v[10:11], v[28:29], v[26:27]
	v_div_fmas_f64 v[10:11], v[10:11], v[12:13], v[28:29]
	v_mul_f64 v[12:13], v[14:15], v[14:15]
	v_div_fixup_f64 v[10:11], v[10:11], v[36:37], v[32:33]
	v_fma_f64 v[32:33], v[12:13], s[8:9], s[6:7]
	s_mov_b32 s6, 0x33d43651
	s_mov_b32 s7, 0x3fe98845
	v_mul_f64 v[10:11], v[22:23], v[10:11]
	v_mul_f64 v[22:23], v[12:13], 0.5
	v_fma_f64 v[32:33], v[12:13], v[32:33], s[10:11]
	v_add_f64 v[26:27], -v[22:23], 1.0
	v_fma_f64 v[32:33], v[12:13], v[32:33], s[16:17]
	v_add_f64 v[28:29], -v[26:27], 1.0
	v_fma_f64 v[32:33], v[12:13], v[32:33], s[18:19]
	v_add_f64 v[22:23], v[28:29], -v[22:23]
	v_mul_f64 v[28:29], v[12:13], v[12:13]
	v_fma_f64 v[32:33], v[12:13], v[32:33], s[20:21]
	v_fma_f64 v[22:23], v[14:15], -v[20:21], v[22:23]
	v_fma_f64 v[22:23], v[28:29], v[32:33], v[22:23]
	v_mul_f64 v[28:29], v[14:15], -v[12:13]
	v_mul_f64 v[32:33], v[20:21], 0.5
	v_add_f64 v[22:23], v[26:27], v[22:23]
	v_fma_f64 v[26:27], v[12:13], s[14:15], s[12:13]
	v_fma_f64 v[26:27], v[12:13], v[26:27], s[22:23]
	;; [unrolled: 1-line block ×5, first 2 shown]
	v_fma_f64 v[12:13], v[12:13], v[26:27], -v[20:21]
	v_fma_f64 v[12:13], v[28:29], s[28:29], v[12:13]
	v_add_f64 v[12:13], v[14:15], -v[12:13]
	v_and_b32_e32 v14, 1, v31
	v_cmp_eq_u32_e32 vcc_lo, 0, v14
	v_lshlrev_b32_e32 v14, 30, v31
	v_and_b32_e32 v14, 0x80000000, v14
	v_xor_b32_e32 v13, 0x80000000, v13
	v_cndmask_b32_e32 v12, v12, v22, vcc_lo
	v_cndmask_b32_e32 v13, v13, v23, vcc_lo
	v_cndmask_b32_e64 v12, 0, v12, s5
	v_cmp_gt_f64_e32 vcc_lo, 0x10000000, v[18:19]
	v_xor_b32_e32 v13, v13, v14
	v_cndmask_b32_e64 v13, 0x7ff80000, v13, s5
	v_mul_f64 v[10:11], v[10:11], v[12:13]
	v_fma_f64 v[2:3], v[24:25], v[2:3], v[10:11]
	v_cndmask_b32_e64 v10, 0, 0x100, vcc_lo
	v_ldexp_f64 v[10:11], v[18:19], v10
	v_mul_f64 v[2:3], v[2:3], s[6:7]
	v_rsq_f64_e32 v[12:13], v[10:11]
	v_mul_f64 v[14:15], v[10:11], v[12:13]
	v_mul_f64 v[12:13], v[12:13], 0.5
	v_fma_f64 v[18:19], -v[12:13], v[14:15], 0.5
	v_fma_f64 v[14:15], v[14:15], v[18:19], v[14:15]
	v_fma_f64 v[12:13], v[12:13], v[18:19], v[12:13]
	v_fma_f64 v[20:21], -v[14:15], v[14:15], v[10:11]
	v_fma_f64 v[14:15], v[20:21], v[12:13], v[14:15]
	v_fma_f64 v[18:19], -v[14:15], v[14:15], v[10:11]
	v_fma_f64 v[12:13], v[18:19], v[12:13], v[14:15]
	v_cndmask_b32_e64 v14, 0, 0xffffff80, vcc_lo
	v_cmp_class_f64_e64 vcc_lo, v[10:11], 0x260
	v_ldexp_f64 v[12:13], v[12:13], v14
	v_cndmask_b32_e32 v11, v13, v11, vcc_lo
	v_cndmask_b32_e32 v10, v12, v10, vcc_lo
	v_div_scale_f64 v[12:13], null, v[10:11], v[10:11], v[2:3]
	v_rcp_f64_e32 v[14:15], v[12:13]
	v_fma_f64 v[18:19], -v[12:13], v[14:15], 1.0
	v_fma_f64 v[14:15], v[14:15], v[18:19], v[14:15]
	v_fma_f64 v[18:19], -v[12:13], v[14:15], 1.0
	v_fma_f64 v[14:15], v[14:15], v[18:19], v[14:15]
	v_div_scale_f64 v[18:19], vcc_lo, v[2:3], v[10:11], v[2:3]
	v_mul_f64 v[20:21], v[18:19], v[14:15]
	v_fma_f64 v[12:13], -v[12:13], v[20:21], v[18:19]
	v_div_fmas_f64 v[12:13], v[12:13], v[14:15], v[20:21]
	v_div_fixup_f64 v[2:3], v[12:13], v[10:11], v[2:3]
.LBB0_25:
	s_or_b32 exec_lo, exec_lo, s42
	v_mov_b32_e32 v14, 0
	v_mov_b32_e32 v15, v14
	;; [unrolled: 1-line block ×6, first 2 shown]
.LBB0_26:
	s_or_b32 exec_lo, exec_lo, s41
	s_mov_b32 s41, exec_lo
	v_cmpx_lt_i32_e64 v35, v4
	s_cbranch_execz .LBB0_44
; %bb.27:
	s_mov_b32 s5, exec_lo
	s_waitcnt vmcnt(0) lgkmcnt(0)
	v_cmpx_ge_f64_e32 0x40140000, v[16:17]
	s_xor_b32 s8, exec_lo, s5
                                        ; implicit-def: $vgpr14_vgpr15
	s_cbranch_execz .LBB0_33
; %bb.28:
	v_mov_b32_e32 v14, 0
	v_mov_b32_e32 v15, 0xfff00000
	s_mov_b32 s9, exec_lo
	v_cmpx_neq_f64_e32 0, v[16:17]
	s_cbranch_execz .LBB0_32
; %bb.29:
	v_mov_b32_e32 v14, 0
	v_mov_b32_e32 v15, 0x7ff80000
	s_mov_b32 s10, exec_lo
	v_cmpx_nge_f64_e32 0, v[16:17]
	s_cbranch_execz .LBB0_31
; %bb.30:
	v_frexp_mant_f64_e32 v[14:15], v[16:17]
	s_mov_b32 s7, 0x3fe55555
	s_mov_b32 s6, 0x55555555
	;; [unrolled: 1-line block ×8, first 2 shown]
	v_frexp_exp_i32_f64_e32 v48, v[16:17]
	s_mov_b32 s18, 0xfefa39ef
	s_mov_b32 s19, 0x3fe62e42
	v_cmp_gt_f64_e32 vcc_lo, s[6:7], v[14:15]
	s_mov_b32 s6, 0x55555780
	v_cndmask_b32_e64 v18, 0, 1, vcc_lo
	v_ldexp_f64 v[14:15], v[14:15], v18
	v_add_f64 v[18:19], v[14:15], 1.0
	v_add_f64 v[24:25], v[14:15], -1.0
	v_rcp_f64_e32 v[20:21], v[18:19]
	v_add_f64 v[26:27], v[18:19], -1.0
	v_add_f64 v[14:15], v[14:15], -v[26:27]
	v_fma_f64 v[22:23], -v[18:19], v[20:21], 1.0
	v_fma_f64 v[20:21], v[22:23], v[20:21], v[20:21]
	v_fma_f64 v[22:23], -v[18:19], v[20:21], 1.0
	v_fma_f64 v[20:21], v[22:23], v[20:21], v[20:21]
	v_mul_f64 v[22:23], v[24:25], v[20:21]
	v_mul_f64 v[28:29], v[18:19], v[22:23]
	v_fma_f64 v[18:19], v[22:23], v[18:19], -v[28:29]
	v_fma_f64 v[14:15], v[22:23], v[14:15], v[18:19]
	v_add_f64 v[18:19], v[28:29], v[14:15]
	v_add_f64 v[26:27], v[24:25], -v[18:19]
	v_add_f64 v[28:29], v[18:19], -v[28:29]
	;; [unrolled: 1-line block ×5, first 2 shown]
	v_add_f64 v[14:15], v[14:15], v[18:19]
	v_add_f64 v[14:15], v[26:27], v[14:15]
	v_mul_f64 v[26:27], v[16:17], v[16:17]
	v_mul_f64 v[14:15], v[20:21], v[14:15]
	v_add_f64 v[18:19], v[22:23], v[14:15]
	v_mul_f64 v[20:21], v[18:19], v[18:19]
	v_ldexp_f64 v[38:39], v[18:19], 1
	v_fma_f64 v[24:25], v[20:21], s[14:15], s[12:13]
	s_mov_b32 s12, 0xd7f4df2e
	s_mov_b32 s13, 0x3fc7474d
	;; [unrolled: 1-line block ×4, first 2 shown]
	v_mul_f64 v[36:37], v[18:19], v[20:21]
	v_fma_f64 v[30:31], v[26:27], 0, s[14:15]
	s_mov_b32 s14, 0xdd701b2
	s_mov_b32 s15, 0x410f5eda
	v_add_f64 v[18:19], v[18:19], -v[22:23]
	v_fma_f64 v[24:25], v[20:21], v[24:25], s[12:13]
	s_mov_b32 s12, 0xa93f7ac2
	s_mov_b32 s13, 0x40829269
	v_fma_f64 v[28:29], v[26:27], 0, s[12:13]
	s_mov_b32 s12, 0x16291751
	s_mov_b32 s13, 0x3fcc71c0
	;; [unrolled: 3-line block ×3, first 2 shown]
	v_add_f64 v[14:15], v[14:15], -v[18:19]
	v_fma_f64 v[24:25], v[20:21], v[24:25], s[12:13]
	s_mov_b32 s12, 0xbe58ef7f
	s_mov_b32 s13, 0x410cc160
	v_fma_f64 v[28:29], v[26:27], v[28:29], s[12:13]
	s_mov_b32 s12, 0x9b27acf1
	s_mov_b32 s13, 0x3fd24924
	;; [unrolled: 3-line block ×3, first 2 shown]
	v_ldexp_f64 v[14:15], v[14:15], 1
	v_fma_f64 v[24:25], v[20:21], v[24:25], s[12:13]
	s_mov_b32 s12, 0x62f9b6c5
	s_mov_b32 s13, 0x41d2d2be
	v_fma_f64 v[32:33], v[26:27], 0, s[12:13]
	v_fma_f64 v[28:29], v[26:27], v[28:29], s[14:15]
	s_mov_b32 s12, 0x998ef7b6
	s_mov_b32 s13, 0x3fd99999
	;; [unrolled: 1-line block ×4, first 2 shown]
	v_fma_f64 v[30:31], v[26:27], v[30:31], s[16:17]
	s_mov_b32 s16, 0x8076ffa8
	s_mov_b32 s17, 0x429146fb
	v_fma_f64 v[24:25], v[20:21], v[24:25], s[12:13]
	s_mov_b32 s12, 0x58836521
	s_mov_b32 s13, 0xc262d72d
	v_fma_f64 v[32:33], v[26:27], v[32:33], s[12:13]
	v_fma_f64 v[28:29], v[26:27], v[28:29], s[14:15]
	s_mov_b32 s12, 0xfda99316
	s_mov_b32 s14, 0x4cda4fc5
	;; [unrolled: 1-line block ×4, first 2 shown]
	v_fma_f64 v[30:31], v[26:27], v[30:31], s[16:17]
	s_mov_b32 s16, 0x3eccf45f
	s_mov_b32 s17, 0x43064b0a
	v_fma_f64 v[20:21], v[20:21], v[24:25], s[6:7]
	s_mov_b32 s6, 0xb0910fef
	s_mov_b32 s7, 0x42da0954
	v_fma_f64 v[24:25], v[26:27], v[32:33], s[6:7]
	v_fma_f64 v[28:29], v[26:27], v[28:29], s[12:13]
	;; [unrolled: 1-line block ×3, first 2 shown]
	s_mov_b32 s6, 0x37a1b083
	s_mov_b32 s12, 0xd71d1e4e
	;; [unrolled: 1-line block ×6, first 2 shown]
	v_fma_f64 v[30:31], v[26:27], v[30:31], s[16:17]
	s_mov_b32 s16, 0xf4653f81
	s_mov_b32 s17, 0x4373e0bf
	v_mul_f64 v[20:21], v[36:37], v[20:21]
	v_subrev_co_ci_u32_e64 v36, null, 0, v48, vcc_lo
	v_fma_f64 v[24:25], v[26:27], v[24:25], s[6:7]
	v_fma_f64 v[28:29], v[26:27], v[28:29], s[12:13]
	;; [unrolled: 1-line block ×3, first 2 shown]
	v_cvt_f64_i32_e32 v[36:37], v36
	s_mov_b32 s6, 0xb7366b1
	s_mov_b32 s12, 0xc547a488
	;; [unrolled: 1-line block ×6, first 2 shown]
	v_fma_f64 v[30:31], v[26:27], v[30:31], s[16:17]
	s_mov_b32 s16, 0xa697c482
	s_mov_b32 s17, 0x432a2b42
	v_add_f64 v[22:23], v[38:39], v[20:21]
	v_fma_f64 v[24:25], v[26:27], v[24:25], s[6:7]
	v_fma_f64 v[28:29], v[26:27], v[28:29], s[12:13]
	;; [unrolled: 1-line block ×3, first 2 shown]
	v_mul_f64 v[48:49], v[36:37], s[18:19]
	s_mov_b32 s6, 0x90f6747f
	s_mov_b32 s12, 0x5dde2b17
	;; [unrolled: 1-line block ×6, first 2 shown]
	v_add_f64 v[18:19], v[22:23], -v[38:39]
	v_fma_f64 v[24:25], v[26:27], v[24:25], s[12:13]
	v_fma_f64 v[28:29], v[26:27], v[28:29], s[6:7]
	;; [unrolled: 1-line block ×4, first 2 shown]
	v_fma_f64 v[30:31], v[36:37], s[18:19], -v[48:49]
	s_mov_b32 s6, 0x3b39803f
	s_mov_b32 s7, 0x3c7abc9e
	v_add_f64 v[18:19], v[20:21], -v[18:19]
	v_div_scale_f64 v[20:21], null, v[28:29], v[28:29], v[24:25]
	v_div_scale_f64 v[38:39], null, v[26:27], v[26:27], v[32:33]
	v_fma_f64 v[30:31], v[36:37], s[6:7], v[30:31]
	s_mov_b32 s6, 0x4189822c
	s_mov_b32 s7, 0xc02d5d2b
	v_add_f64 v[14:15], v[14:15], v[18:19]
	v_rcp_f64_e32 v[18:19], v[20:21]
	v_rcp_f64_e32 v[36:37], v[38:39]
	v_add_f64 v[50:51], v[48:49], v[30:31]
	v_add_f64 v[52:53], v[22:23], v[14:15]
	v_fma_f64 v[54:55], -v[20:21], v[18:19], 1.0
	v_fma_f64 v[64:65], -v[38:39], v[36:37], 1.0
	v_add_f64 v[48:49], v[50:51], -v[48:49]
	v_add_f64 v[66:67], v[50:51], v[52:53]
	v_add_f64 v[22:23], v[52:53], -v[22:23]
	v_fma_f64 v[18:19], v[18:19], v[54:55], v[18:19]
	v_fma_f64 v[36:37], v[36:37], v[64:65], v[36:37]
	v_div_scale_f64 v[64:65], null, v[16:17], v[16:17], -1.0
	v_add_f64 v[30:31], v[30:31], -v[48:49]
	v_div_scale_f64 v[48:49], vcc_lo, v[24:25], v[28:29], v[24:25]
	v_add_f64 v[54:55], v[66:67], -v[50:51]
	v_add_f64 v[14:15], v[14:15], -v[22:23]
	v_fma_f64 v[68:69], -v[20:21], v[18:19], 1.0
	v_fma_f64 v[70:71], -v[38:39], v[36:37], 1.0
	v_rcp_f64_e32 v[82:83], v[64:65]
	v_add_f64 v[80:81], v[66:67], -v[54:55]
	v_add_f64 v[22:23], v[52:53], -v[54:55]
	v_fma_f64 v[18:19], v[18:19], v[68:69], v[18:19]
	v_div_scale_f64 v[68:69], s5, v[32:33], v[26:27], v[32:33]
	v_fma_f64 v[36:37], v[36:37], v[70:71], v[36:37]
	v_fma_f64 v[52:53], -v[64:65], v[82:83], 1.0
	v_add_f64 v[50:51], v[50:51], -v[80:81]
	v_add_f64 v[80:81], v[30:31], v[14:15]
	v_mul_f64 v[54:55], v[48:49], v[18:19]
	v_mul_f64 v[70:71], v[68:69], v[36:37]
	v_add_f64 v[22:23], v[22:23], v[50:51]
	v_fma_f64 v[50:51], v[82:83], v[52:53], v[82:83]
	v_fma_f64 v[20:21], -v[20:21], v[54:55], v[48:49]
	v_add_f64 v[48:49], v[80:81], -v[30:31]
	v_fma_f64 v[38:39], -v[38:39], v[70:71], v[68:69]
	v_add_f64 v[22:23], v[80:81], v[22:23]
	v_fma_f64 v[52:53], -v[64:65], v[50:51], 1.0
	v_div_fmas_f64 v[18:19], v[20:21], v[18:19], v[54:55]
	s_mov_b32 vcc_lo, s5
	v_add_f64 v[14:15], v[14:15], -v[48:49]
	v_div_fmas_f64 v[20:21], v[38:39], v[36:37], v[70:71]
	v_add_f64 v[36:37], v[80:81], -v[48:49]
	v_div_scale_f64 v[54:55], vcc_lo, -1.0, v[16:17], -1.0
	v_add_f64 v[38:39], v[66:67], v[22:23]
	v_fma_f64 v[50:51], v[50:51], v[52:53], v[50:51]
	v_div_fixup_f64 v[18:19], v[18:19], v[28:29], v[24:25]
	v_div_fixup_f64 v[20:21], v[20:21], v[26:27], v[32:33]
	v_add_f64 v[26:27], v[30:31], -v[36:37]
	v_fma_f64 v[36:37], v[16:17], v[16:17], s[6:7]
	s_mov_b32 s6, 0x6072a432
	s_mov_b32 s7, 0xc0489bf6
	v_add_f64 v[30:31], v[38:39], -v[66:67]
	v_mul_f64 v[32:33], v[54:55], v[50:51]
	v_mul_f64 v[20:21], v[16:17], v[20:21]
	v_add_f64 v[14:15], v[14:15], v[26:27]
	v_add_f64 v[22:23], v[22:23], -v[30:31]
	v_fma_f64 v[26:27], -v[64:65], v[32:33], v[54:55]
	v_fma_f64 v[30:31], v[16:17], v[16:17], s[6:7]
	s_mov_b32 s6, 0x6dc9c883
	s_mov_b32 s7, 0x3fe45f30
	v_mul_f64 v[20:21], v[36:37], v[20:21]
	v_add_f64 v[14:15], v[14:15], v[22:23]
	v_div_fmas_f64 v[22:23], v[26:27], v[50:51], v[32:33]
	v_mul_f64 v[20:21], v[30:31], v[20:21]
	v_add_f64 v[14:15], v[38:39], v[14:15]
	v_div_fixup_f64 v[22:23], v[22:23], v[16:17], -1.0
	v_fma_f64 v[14:15], v[20:21], v[14:15], v[22:23]
	v_mul_f64 v[14:15], v[14:15], s[6:7]
	v_fma_f64 v[14:15], v[16:17], v[18:19], v[14:15]
.LBB0_31:
	s_or_b32 exec_lo, exec_lo, s10
.LBB0_32:
	s_or_b32 exec_lo, exec_lo, s9
                                        ; implicit-def: $vgpr16_vgpr17
.LBB0_33:
	s_andn2_saveexec_b32 s42, s8
	s_cbranch_execz .LBB0_43
; %bb.34:
	s_mov_b32 s6, 0x7f3321d2
	s_mov_b32 s7, 0xc002d97c
                                        ; implicit-def: $vgpr36
                                        ; implicit-def: $vgpr18_vgpr19
                                        ; implicit-def: $vgpr20_vgpr21
	v_add_f64 v[14:15], v[16:17], s[6:7]
	v_cmp_ngt_f64_e64 s5, 0x41d00000, |v[14:15]|
	v_trig_preop_f64 v[30:31], |v[14:15]|, 0
	v_trig_preop_f64 v[28:29], |v[14:15]|, 1
	v_ldexp_f64 v[32:33], |v[14:15]|, 0xffffff80
	v_trig_preop_f64 v[26:27], |v[14:15]|, 2
	v_and_b32_e32 v38, 0x7fffffff, v15
	s_and_saveexec_b32 s6, s5
	s_xor_b32 s6, exec_lo, s6
	s_cbranch_execz .LBB0_36
; %bb.35:
	v_cmp_le_f64_e64 vcc_lo, 0x7b000000, |v[14:15]|
	v_mov_b32_e32 v66, 0
	s_mov_b32 s8, 0x54442d18
	s_mov_b32 s9, 0x3ff921fb
	;; [unrolled: 1-line block ×4, first 2 shown]
	v_cndmask_b32_e32 v19, v38, v33, vcc_lo
	v_cndmask_b32_e32 v18, v14, v32, vcc_lo
	v_mul_f64 v[20:21], v[30:31], v[18:19]
	v_mul_f64 v[22:23], v[28:29], v[18:19]
	;; [unrolled: 1-line block ×3, first 2 shown]
	v_fma_f64 v[24:25], v[30:31], v[18:19], -v[20:21]
	v_fma_f64 v[64:65], v[28:29], v[18:19], -v[22:23]
	;; [unrolled: 1-line block ×3, first 2 shown]
	v_add_f64 v[36:37], v[22:23], v[24:25]
	v_add_f64 v[48:49], v[36:37], -v[22:23]
	v_add_f64 v[52:53], v[20:21], v[36:37]
	v_add_f64 v[50:51], v[36:37], -v[48:49]
	v_add_f64 v[24:25], v[24:25], -v[48:49]
	v_ldexp_f64 v[48:49], v[52:53], -2
	v_add_f64 v[20:21], v[52:53], -v[20:21]
	v_add_f64 v[22:23], v[22:23], -v[50:51]
	v_add_f64 v[50:51], v[54:55], v[64:65]
	v_cmp_neq_f64_e64 vcc_lo, 0x7ff00000, |v[48:49]|
	v_add_f64 v[20:21], v[36:37], -v[20:21]
	v_add_f64 v[22:23], v[24:25], v[22:23]
	v_fract_f64_e32 v[24:25], v[48:49]
	v_add_f64 v[36:37], v[50:51], v[22:23]
	v_ldexp_f64 v[24:25], v[24:25], 2
	v_add_f64 v[48:49], v[20:21], v[36:37]
	v_cndmask_b32_e32 v25, 0, v25, vcc_lo
	v_cndmask_b32_e32 v24, 0, v24, vcc_lo
	v_add_f64 v[52:53], v[48:49], v[24:25]
	v_add_f64 v[20:21], v[48:49], -v[20:21]
	v_cmp_gt_f64_e32 vcc_lo, 0, v[52:53]
	v_add_f64 v[52:53], v[50:51], -v[54:55]
	v_add_f64 v[20:21], v[36:37], -v[20:21]
	v_cndmask_b32_e64 v67, 0, 0x40100000, vcc_lo
	v_add_f64 v[80:81], v[50:51], -v[52:53]
	v_add_f64 v[52:53], v[64:65], -v[52:53]
	v_add_f64 v[24:25], v[24:25], v[66:67]
	v_add_f64 v[67:68], v[36:37], -v[50:51]
	v_add_f64 v[64:65], v[54:55], -v[80:81]
	v_add_f64 v[69:70], v[48:49], v[24:25]
	v_add_f64 v[82:83], v[36:37], -v[67:68]
	v_add_f64 v[22:23], v[22:23], -v[67:68]
	v_add_f64 v[52:53], v[52:53], v[64:65]
	v_cvt_i32_f64_e32 v39, v[69:70]
	v_add_f64 v[50:51], v[50:51], -v[82:83]
	v_cvt_f64_i32_e32 v[67:68], v39
	v_add_f64 v[22:23], v[22:23], v[50:51]
	v_add_f64 v[24:25], v[24:25], -v[67:68]
	v_add_f64 v[22:23], v[52:53], v[22:23]
	v_add_f64 v[50:51], v[48:49], v[24:25]
	;; [unrolled: 1-line block ×3, first 2 shown]
	v_add_f64 v[22:23], v[50:51], -v[24:25]
	v_cmp_le_f64_e32 vcc_lo, 0.5, v[50:51]
	v_add_f64 v[18:19], v[20:21], v[18:19]
	v_add_f64 v[20:21], v[48:49], -v[22:23]
	v_cndmask_b32_e64 v67, 0, 0x3ff00000, vcc_lo
	v_add_co_ci_u32_e64 v36, null, 0, v39, vcc_lo
	v_add_f64 v[18:19], v[18:19], v[20:21]
	v_add_f64 v[20:21], v[50:51], -v[66:67]
	v_add_f64 v[22:23], v[20:21], v[18:19]
	v_mul_f64 v[24:25], v[22:23], s[8:9]
	v_add_f64 v[20:21], v[22:23], -v[20:21]
	v_fma_f64 v[48:49], v[22:23], s[8:9], -v[24:25]
	v_add_f64 v[18:19], v[18:19], -v[20:21]
	v_fma_f64 v[20:21], v[22:23], s[10:11], v[48:49]
	v_fma_f64 v[20:21], v[18:19], s[8:9], v[20:21]
	v_add_f64 v[18:19], v[24:25], v[20:21]
	v_add_f64 v[22:23], v[18:19], -v[24:25]
	v_add_f64 v[20:21], v[20:21], -v[22:23]
	s_andn2_saveexec_b32 s6, s6
	s_cbranch_execz .LBB0_38
	s_branch .LBB0_37
.LBB0_36:
	s_andn2_saveexec_b32 s6, s6
	s_cbranch_execz .LBB0_38
.LBB0_37:
	s_mov_b32 s8, 0x6dc9c883
	s_mov_b32 s9, 0x3fe45f30
	;; [unrolled: 1-line block ×3, first 2 shown]
	v_mul_f64 v[18:19], |v[14:15]|, s[8:9]
	s_mov_b32 s8, 0x54442d18
	s_mov_b32 s9, 0xbff921fb
	;; [unrolled: 1-line block ×3, first 2 shown]
	v_rndne_f64_e32 v[22:23], v[18:19]
	v_fma_f64 v[18:19], v[22:23], s[8:9], |v[14:15]|
	v_mul_f64 v[20:21], v[22:23], s[10:11]
	s_mov_b32 s8, 0x252049c0
	s_mov_b32 s9, 0xb97b839a
	v_fma_f64 v[36:37], v[22:23], s[10:11], v[18:19]
	v_add_f64 v[24:25], v[18:19], v[20:21]
	s_mov_b32 s11, 0x3c91a626
	v_add_f64 v[18:19], v[18:19], -v[24:25]
	v_add_f64 v[24:25], v[24:25], -v[36:37]
	v_add_f64 v[18:19], v[18:19], v[20:21]
	v_fma_f64 v[20:21], v[22:23], s[10:11], v[20:21]
	v_add_f64 v[18:19], v[24:25], v[18:19]
	v_add_f64 v[18:19], v[18:19], -v[20:21]
	v_fma_f64 v[20:21], v[22:23], s[8:9], v[18:19]
	v_add_f64 v[18:19], v[36:37], v[20:21]
	v_add_f64 v[24:25], v[18:19], -v[36:37]
	v_cvt_i32_f64_e32 v36, v[22:23]
	v_add_f64 v[20:21], v[20:21], -v[24:25]
.LBB0_38:
	s_or_b32 exec_lo, exec_lo, s6
                                        ; implicit-def: $vgpr37
                                        ; implicit-def: $vgpr22_vgpr23
                                        ; implicit-def: $vgpr24_vgpr25
	s_and_saveexec_b32 s6, s5
	s_xor_b32 s5, exec_lo, s6
	s_cbranch_execz .LBB0_40
; %bb.39:
	v_cmp_le_f64_e64 vcc_lo, 0x7b000000, |v[14:15]|
	v_mov_b32_e32 v64, 0
	s_mov_b32 s6, 0x54442d18
	s_mov_b32 s7, 0x3ff921fb
	;; [unrolled: 1-line block ×4, first 2 shown]
	v_cndmask_b32_e32 v23, v38, v33, vcc_lo
	v_cndmask_b32_e32 v22, v14, v32, vcc_lo
	v_mul_f64 v[24:25], v[30:31], v[22:23]
	v_mul_f64 v[32:33], v[28:29], v[22:23]
	;; [unrolled: 1-line block ×3, first 2 shown]
	v_fma_f64 v[30:31], v[30:31], v[22:23], -v[24:25]
	v_fma_f64 v[28:29], v[28:29], v[22:23], -v[32:33]
	v_fma_f64 v[22:23], v[26:27], v[22:23], -v[54:55]
	v_add_f64 v[37:38], v[32:33], v[30:31]
	v_add_f64 v[48:49], v[37:38], -v[32:33]
	v_add_f64 v[52:53], v[24:25], v[37:38]
	v_add_f64 v[50:51], v[37:38], -v[48:49]
	v_add_f64 v[30:31], v[30:31], -v[48:49]
	v_ldexp_f64 v[48:49], v[52:53], -2
	v_add_f64 v[24:25], v[52:53], -v[24:25]
	v_add_f64 v[32:33], v[32:33], -v[50:51]
	v_add_f64 v[50:51], v[54:55], v[28:29]
	v_cmp_neq_f64_e64 vcc_lo, 0x7ff00000, |v[48:49]|
	v_add_f64 v[24:25], v[37:38], -v[24:25]
	v_add_f64 v[30:31], v[30:31], v[32:33]
	v_fract_f64_e32 v[32:33], v[48:49]
	v_add_f64 v[37:38], v[50:51], v[30:31]
	v_ldexp_f64 v[32:33], v[32:33], 2
	v_add_f64 v[48:49], v[24:25], v[37:38]
	v_cndmask_b32_e32 v33, 0, v33, vcc_lo
	v_cndmask_b32_e32 v32, 0, v32, vcc_lo
	v_add_f64 v[52:53], v[48:49], v[32:33]
	v_add_f64 v[24:25], v[48:49], -v[24:25]
	v_cmp_gt_f64_e32 vcc_lo, 0, v[52:53]
	v_add_f64 v[52:53], v[50:51], -v[54:55]
	v_add_f64 v[24:25], v[37:38], -v[24:25]
	v_cndmask_b32_e64 v65, 0, 0x40100000, vcc_lo
	v_add_f64 v[69:70], v[50:51], -v[52:53]
	v_add_f64 v[28:29], v[28:29], -v[52:53]
	v_add_f64 v[32:33], v[32:33], v[64:65]
	v_add_f64 v[65:66], v[37:38], -v[50:51]
	v_add_f64 v[52:53], v[54:55], -v[69:70]
	v_add_f64 v[67:68], v[48:49], v[32:33]
	;; [unrolled: 3-line block ×3, first 2 shown]
	v_cvt_i32_f64_e32 v39, v[67:68]
	v_add_f64 v[50:51], v[50:51], -v[80:81]
	v_cvt_f64_i32_e32 v[65:66], v39
	v_add_f64 v[30:31], v[30:31], v[50:51]
	v_add_f64 v[32:33], v[32:33], -v[65:66]
	v_add_f64 v[26:27], v[28:29], v[30:31]
	v_add_f64 v[28:29], v[48:49], v[32:33]
	;; [unrolled: 1-line block ×3, first 2 shown]
	v_add_f64 v[26:27], v[28:29], -v[32:33]
	v_cmp_le_f64_e32 vcc_lo, 0.5, v[28:29]
	v_add_f64 v[22:23], v[24:25], v[22:23]
	v_add_f64 v[24:25], v[48:49], -v[26:27]
	v_cndmask_b32_e64 v65, 0, 0x3ff00000, vcc_lo
	v_add_co_ci_u32_e64 v37, null, 0, v39, vcc_lo
	v_add_f64 v[22:23], v[22:23], v[24:25]
	v_add_f64 v[24:25], v[28:29], -v[64:65]
	v_add_f64 v[26:27], v[24:25], v[22:23]
	v_mul_f64 v[28:29], v[26:27], s[6:7]
	v_add_f64 v[24:25], v[26:27], -v[24:25]
	v_fma_f64 v[30:31], v[26:27], s[6:7], -v[28:29]
	v_add_f64 v[22:23], v[22:23], -v[24:25]
	v_fma_f64 v[24:25], v[26:27], s[8:9], v[30:31]
	v_fma_f64 v[24:25], v[22:23], s[6:7], v[24:25]
	v_add_f64 v[22:23], v[28:29], v[24:25]
	v_add_f64 v[26:27], v[22:23], -v[28:29]
	v_add_f64 v[24:25], v[24:25], -v[26:27]
	s_andn2_saveexec_b32 s5, s5
	s_cbranch_execnz .LBB0_41
	s_branch .LBB0_42
.LBB0_40:
	s_andn2_saveexec_b32 s5, s5
	s_cbranch_execz .LBB0_42
.LBB0_41:
	s_mov_b32 s6, 0x6dc9c883
	s_mov_b32 s7, 0x3fe45f30
	;; [unrolled: 1-line block ×3, first 2 shown]
	v_mul_f64 v[22:23], |v[14:15]|, s[6:7]
	s_mov_b32 s6, 0x54442d18
	s_mov_b32 s7, 0xbff921fb
	;; [unrolled: 1-line block ×3, first 2 shown]
	v_rndne_f64_e32 v[26:27], v[22:23]
	v_fma_f64 v[22:23], v[26:27], s[6:7], |v[14:15]|
	v_mul_f64 v[24:25], v[26:27], s[8:9]
	s_mov_b32 s6, 0x252049c0
	s_mov_b32 s7, 0xb97b839a
	v_cvt_i32_f64_e32 v37, v[26:27]
	v_fma_f64 v[30:31], v[26:27], s[8:9], v[22:23]
	v_add_f64 v[28:29], v[22:23], v[24:25]
	s_mov_b32 s9, 0x3c91a626
	v_add_f64 v[22:23], v[22:23], -v[28:29]
	v_add_f64 v[28:29], v[28:29], -v[30:31]
	v_add_f64 v[22:23], v[22:23], v[24:25]
	v_fma_f64 v[24:25], v[26:27], s[8:9], v[24:25]
	v_add_f64 v[22:23], v[28:29], v[22:23]
	v_add_f64 v[22:23], v[22:23], -v[24:25]
	v_fma_f64 v[24:25], v[26:27], s[6:7], v[22:23]
	v_add_f64 v[22:23], v[30:31], v[24:25]
	v_add_f64 v[28:29], v[22:23], -v[30:31]
	v_add_f64 v[24:25], v[24:25], -v[28:29]
.LBB0_42:
	s_or_b32 exec_lo, exec_lo, s5
	v_div_scale_f64 v[26:27], null, v[16:17], v[16:17], 0x40140000
	s_mov_b32 s6, 0x4c6c651b
	s_mov_b32 s7, 0x3f48f92c
	;; [unrolled: 1-line block ×20, first 2 shown]
	v_rcp_f64_e32 v[28:29], v[26:27]
	s_mov_b32 s26, 0x11110bb3
	s_mov_b32 s27, 0x3f811111
	;; [unrolled: 1-line block ×4, first 2 shown]
	v_cmp_class_f64_e64 s5, v[14:15], 0x1f8
	v_fma_f64 v[30:31], -v[26:27], v[28:29], 1.0
	v_fma_f64 v[28:29], v[28:29], v[30:31], v[28:29]
	v_fma_f64 v[30:31], -v[26:27], v[28:29], 1.0
	v_fma_f64 v[28:29], v[28:29], v[30:31], v[28:29]
	v_div_scale_f64 v[30:31], vcc_lo, 0x40140000, v[16:17], 0x40140000
	v_mul_f64 v[32:33], v[30:31], v[28:29]
	v_fma_f64 v[26:27], -v[26:27], v[32:33], v[30:31]
	v_div_fmas_f64 v[26:27], v[26:27], v[28:29], v[32:33]
	v_div_fixup_f64 v[26:27], v[26:27], v[16:17], 0x40140000
	v_mul_f64 v[28:29], v[26:27], v[26:27]
	v_fma_f64 v[30:31], v[28:29], 0, s[6:7]
	s_mov_b32 s6, 0xa3fec4b6
	s_mov_b32 s7, 0x3fb2b948
	v_fma_f64 v[30:31], v[28:29], v[30:31], s[6:7]
	s_mov_b32 s6, 0xc21596d6
	s_mov_b32 s7, 0x3ff208fe
	;; [unrolled: 3-line block ×13, first 2 shown]
	v_fma_f64 v[32:33], v[28:29], v[32:33], 1.0
	v_fma_f64 v[38:39], v[28:29], v[38:39], s[6:7]
	s_mov_b32 s6, 0x9acf1c67
	s_mov_b32 s7, 0x4052f4b9
	v_fma_f64 v[38:39], v[28:29], v[38:39], s[6:7]
	s_mov_b32 s6, 0x47aa180d
	s_mov_b32 s7, 0x4076ec79
	;; [unrolled: 3-line block ×13, first 2 shown]
	v_fma_f64 v[48:49], v[28:29], v[48:49], s[6:7]
	v_fma_f64 v[28:29], v[28:29], v[30:31], 1.0
	s_mov_b32 s6, 0x9037ab78
	s_mov_b32 s7, 0x3e21eeb6
	v_div_scale_f64 v[30:31], null, v[32:33], v[32:33], v[28:29]
	v_rcp_f64_e32 v[50:51], v[30:31]
	v_fma_f64 v[52:53], -v[30:31], v[50:51], 1.0
	v_fma_f64 v[50:51], v[50:51], v[52:53], v[50:51]
	v_fma_f64 v[52:53], -v[30:31], v[50:51], 1.0
	v_fma_f64 v[50:51], v[50:51], v[52:53], v[50:51]
	v_div_scale_f64 v[52:53], vcc_lo, v[28:29], v[32:33], v[28:29]
	v_mul_f64 v[54:55], v[52:53], v[50:51]
	v_fma_f64 v[30:31], -v[30:31], v[54:55], v[52:53]
	v_div_fmas_f64 v[30:31], v[30:31], v[50:51], v[54:55]
	v_div_fixup_f64 v[28:29], v[30:31], v[32:33], v[28:29]
	v_mul_f64 v[30:31], v[18:19], v[18:19]
	v_mul_f64 v[32:33], v[30:31], 0.5
	v_fma_f64 v[54:55], v[30:31], s[8:9], s[6:7]
	v_add_f64 v[50:51], -v[32:33], 1.0
	v_fma_f64 v[54:55], v[30:31], v[54:55], s[10:11]
	v_add_f64 v[52:53], -v[50:51], 1.0
	v_fma_f64 v[54:55], v[30:31], v[54:55], s[16:17]
	v_add_f64 v[32:33], v[52:53], -v[32:33]
	v_fma_f64 v[54:55], v[30:31], v[54:55], s[18:19]
	v_mul_f64 v[52:53], v[30:31], v[30:31]
	v_fma_f64 v[32:33], v[18:19], -v[20:21], v[32:33]
	v_fma_f64 v[54:55], v[30:31], v[54:55], s[20:21]
	v_fma_f64 v[32:33], v[52:53], v[54:55], v[32:33]
	v_mul_f64 v[52:53], v[18:19], -v[30:31]
	v_mul_f64 v[54:55], v[20:21], 0.5
	v_add_f64 v[32:33], v[50:51], v[32:33]
	v_fma_f64 v[50:51], v[30:31], s[14:15], s[12:13]
	v_fma_f64 v[50:51], v[30:31], v[50:51], s[22:23]
	v_fma_f64 v[50:51], v[30:31], v[50:51], s[24:25]
	v_fma_f64 v[50:51], v[30:31], v[50:51], s[26:27]
	v_fma_f64 v[50:51], v[52:53], v[50:51], v[54:55]
	v_fma_f64 v[20:21], v[30:31], v[50:51], -v[20:21]
	v_fma_f64 v[20:21], v[52:53], s[28:29], v[20:21]
	v_add_f64 v[18:19], v[18:19], -v[20:21]
	v_and_b32_e32 v20, 1, v36
	v_cmp_eq_u32_e32 vcc_lo, 0, v20
	v_lshlrev_b32_e32 v20, 30, v36
	v_xor_b32_e32 v20, v20, v15
	v_and_b32_e32 v20, 0x80000000, v20
	v_cndmask_b32_e32 v19, v33, v19, vcc_lo
	v_cndmask_b32_e32 v18, v32, v18, vcc_lo
	v_xor_b32_e32 v19, v19, v20
	v_cndmask_b32_e64 v14, 0, v18, s5
	v_cndmask_b32_e64 v15, 0x7ff80000, v19, s5
	v_div_scale_f64 v[18:19], null, v[48:49], v[48:49], v[38:39]
	v_rcp_f64_e32 v[20:21], v[18:19]
	v_fma_f64 v[30:31], -v[18:19], v[20:21], 1.0
	v_fma_f64 v[20:21], v[20:21], v[30:31], v[20:21]
	v_fma_f64 v[30:31], -v[18:19], v[20:21], 1.0
	v_fma_f64 v[20:21], v[20:21], v[30:31], v[20:21]
	v_div_scale_f64 v[30:31], vcc_lo, v[38:39], v[48:49], v[38:39]
	v_mul_f64 v[32:33], v[30:31], v[20:21]
	v_fma_f64 v[18:19], -v[18:19], v[32:33], v[30:31]
	v_div_fmas_f64 v[18:19], v[18:19], v[20:21], v[32:33]
	v_mul_f64 v[20:21], v[22:23], v[22:23]
	v_div_fixup_f64 v[18:19], v[18:19], v[48:49], v[38:39]
	v_fma_f64 v[38:39], v[20:21], s[8:9], s[6:7]
	s_mov_b32 s6, 0x33d43651
	s_mov_b32 s7, 0x3fe98845
	v_mul_f64 v[18:19], v[26:27], v[18:19]
	v_mul_f64 v[26:27], v[20:21], 0.5
	v_fma_f64 v[38:39], v[20:21], v[38:39], s[10:11]
	v_add_f64 v[30:31], -v[26:27], 1.0
	v_fma_f64 v[38:39], v[20:21], v[38:39], s[16:17]
	v_add_f64 v[32:33], -v[30:31], 1.0
	v_fma_f64 v[38:39], v[20:21], v[38:39], s[18:19]
	v_add_f64 v[26:27], v[32:33], -v[26:27]
	v_mul_f64 v[32:33], v[20:21], v[20:21]
	v_fma_f64 v[38:39], v[20:21], v[38:39], s[20:21]
	v_fma_f64 v[26:27], v[22:23], -v[24:25], v[26:27]
	v_fma_f64 v[26:27], v[32:33], v[38:39], v[26:27]
	v_mul_f64 v[32:33], v[22:23], -v[20:21]
	v_mul_f64 v[38:39], v[24:25], 0.5
	v_add_f64 v[26:27], v[30:31], v[26:27]
	v_fma_f64 v[30:31], v[20:21], s[14:15], s[12:13]
	v_fma_f64 v[30:31], v[20:21], v[30:31], s[22:23]
	;; [unrolled: 1-line block ×5, first 2 shown]
	v_fma_f64 v[20:21], v[20:21], v[30:31], -v[24:25]
	v_fma_f64 v[20:21], v[32:33], s[28:29], v[20:21]
	v_add_f64 v[20:21], v[22:23], -v[20:21]
	v_and_b32_e32 v22, 1, v37
	v_cmp_eq_u32_e32 vcc_lo, 0, v22
	v_lshlrev_b32_e32 v22, 30, v37
	v_and_b32_e32 v22, 0x80000000, v22
	v_xor_b32_e32 v21, 0x80000000, v21
	v_cndmask_b32_e32 v20, v20, v26, vcc_lo
	v_cndmask_b32_e32 v21, v21, v27, vcc_lo
	v_cndmask_b32_e64 v20, 0, v20, s5
	v_cmp_gt_f64_e32 vcc_lo, 0x10000000, v[16:17]
	v_xor_b32_e32 v21, v21, v22
	v_cndmask_b32_e64 v21, 0x7ff80000, v21, s5
	v_mul_f64 v[18:19], v[18:19], v[20:21]
	v_fma_f64 v[14:15], v[28:29], v[14:15], v[18:19]
	v_cndmask_b32_e64 v18, 0, 0x100, vcc_lo
	v_ldexp_f64 v[16:17], v[16:17], v18
	v_mul_f64 v[14:15], v[14:15], s[6:7]
	v_rsq_f64_e32 v[18:19], v[16:17]
	v_mul_f64 v[20:21], v[16:17], v[18:19]
	v_mul_f64 v[18:19], v[18:19], 0.5
	v_fma_f64 v[22:23], -v[18:19], v[20:21], 0.5
	v_fma_f64 v[20:21], v[20:21], v[22:23], v[20:21]
	v_fma_f64 v[18:19], v[18:19], v[22:23], v[18:19]
	v_fma_f64 v[24:25], -v[20:21], v[20:21], v[16:17]
	v_fma_f64 v[20:21], v[24:25], v[18:19], v[20:21]
	v_fma_f64 v[22:23], -v[20:21], v[20:21], v[16:17]
	v_fma_f64 v[18:19], v[22:23], v[18:19], v[20:21]
	v_cndmask_b32_e64 v20, 0, 0xffffff80, vcc_lo
	v_cmp_class_f64_e64 vcc_lo, v[16:17], 0x260
	v_ldexp_f64 v[18:19], v[18:19], v20
	v_cndmask_b32_e32 v17, v19, v17, vcc_lo
	v_cndmask_b32_e32 v16, v18, v16, vcc_lo
	v_div_scale_f64 v[18:19], null, v[16:17], v[16:17], v[14:15]
	v_rcp_f64_e32 v[20:21], v[18:19]
	v_fma_f64 v[22:23], -v[18:19], v[20:21], 1.0
	v_fma_f64 v[20:21], v[20:21], v[22:23], v[20:21]
	v_fma_f64 v[22:23], -v[18:19], v[20:21], 1.0
	v_fma_f64 v[20:21], v[20:21], v[22:23], v[20:21]
	v_div_scale_f64 v[22:23], vcc_lo, v[14:15], v[16:17], v[14:15]
	v_mul_f64 v[24:25], v[22:23], v[20:21]
	v_fma_f64 v[18:19], -v[18:19], v[24:25], v[22:23]
	v_div_fmas_f64 v[18:19], v[18:19], v[20:21], v[24:25]
	v_div_fixup_f64 v[14:15], v[18:19], v[16:17], v[14:15]
.LBB0_43:
	s_or_b32 exec_lo, exec_lo, s42
.LBB0_44:
	s_or_b32 exec_lo, exec_lo, s41
	s_waitcnt vmcnt(0) lgkmcnt(0)
	v_add_nc_u32_e32 v16, 0x200, v34
	s_mov_b32 s41, exec_lo
	v_cmpx_lt_i32_e64 v16, v4
	s_cbranch_execz .LBB0_62
; %bb.45:
	s_mov_b32 s5, exec_lo
	v_cmpx_ge_f64_e32 0x40140000, v[8:9]
	s_xor_b32 s8, exec_lo, s5
                                        ; implicit-def: $vgpr12_vgpr13
	s_cbranch_execz .LBB0_51
; %bb.46:
	v_mov_b32_e32 v12, 0
	v_mov_b32_e32 v13, 0xfff00000
	s_mov_b32 s9, exec_lo
	v_cmpx_neq_f64_e32 0, v[8:9]
	s_cbranch_execz .LBB0_50
; %bb.47:
	v_mov_b32_e32 v12, 0
	v_mov_b32_e32 v13, 0x7ff80000
	s_mov_b32 s10, exec_lo
	v_cmpx_nge_f64_e32 0, v[8:9]
	s_cbranch_execz .LBB0_49
; %bb.48:
	v_frexp_mant_f64_e32 v[12:13], v[8:9]
	s_mov_b32 s7, 0x3fe55555
	s_mov_b32 s6, 0x55555555
	s_mov_b32 s12, 0x6b47b09a
	s_mov_b32 s14, 0xbf559e2b
	s_mov_b32 s13, 0x3fc38538
	s_mov_b32 s15, 0x3fc3ab76
	s_mov_b32 s16, 0xdc92a1b1
	s_mov_b32 s17, 0x4193e954
	v_frexp_exp_i32_f64_e32 v38, v[8:9]
	s_mov_b32 s18, 0xfefa39ef
	s_mov_b32 s19, 0x3fe62e42
	v_cmp_gt_f64_e32 vcc_lo, s[6:7], v[12:13]
	s_mov_b32 s6, 0x55555780
	v_cndmask_b32_e64 v16, 0, 1, vcc_lo
	v_ldexp_f64 v[12:13], v[12:13], v16
	v_add_f64 v[16:17], v[12:13], 1.0
	v_add_f64 v[22:23], v[12:13], -1.0
	v_rcp_f64_e32 v[18:19], v[16:17]
	v_add_f64 v[24:25], v[16:17], -1.0
	v_add_f64 v[12:13], v[12:13], -v[24:25]
	v_fma_f64 v[20:21], -v[16:17], v[18:19], 1.0
	v_fma_f64 v[18:19], v[20:21], v[18:19], v[18:19]
	v_fma_f64 v[20:21], -v[16:17], v[18:19], 1.0
	v_fma_f64 v[18:19], v[20:21], v[18:19], v[18:19]
	v_mul_f64 v[20:21], v[22:23], v[18:19]
	v_mul_f64 v[26:27], v[16:17], v[20:21]
	v_fma_f64 v[16:17], v[20:21], v[16:17], -v[26:27]
	v_fma_f64 v[12:13], v[20:21], v[12:13], v[16:17]
	v_add_f64 v[16:17], v[26:27], v[12:13]
	v_add_f64 v[24:25], v[22:23], -v[16:17]
	v_add_f64 v[26:27], v[16:17], -v[26:27]
	;; [unrolled: 1-line block ×5, first 2 shown]
	v_add_f64 v[12:13], v[12:13], v[16:17]
	v_add_f64 v[12:13], v[24:25], v[12:13]
	v_mul_f64 v[24:25], v[8:9], v[8:9]
	v_mul_f64 v[12:13], v[18:19], v[12:13]
	v_add_f64 v[16:17], v[20:21], v[12:13]
	v_mul_f64 v[18:19], v[16:17], v[16:17]
	v_ldexp_f64 v[36:37], v[16:17], 1
	v_fma_f64 v[22:23], v[18:19], s[14:15], s[12:13]
	s_mov_b32 s12, 0xd7f4df2e
	s_mov_b32 s13, 0x3fc7474d
	;; [unrolled: 1-line block ×4, first 2 shown]
	v_mul_f64 v[32:33], v[16:17], v[18:19]
	v_fma_f64 v[28:29], v[24:25], 0, s[14:15]
	s_mov_b32 s14, 0xdd701b2
	s_mov_b32 s15, 0x410f5eda
	v_add_f64 v[16:17], v[16:17], -v[20:21]
	v_fma_f64 v[22:23], v[18:19], v[22:23], s[12:13]
	s_mov_b32 s12, 0xa93f7ac2
	s_mov_b32 s13, 0x40829269
	v_fma_f64 v[26:27], v[24:25], 0, s[12:13]
	s_mov_b32 s12, 0x16291751
	s_mov_b32 s13, 0x3fcc71c0
	;; [unrolled: 3-line block ×3, first 2 shown]
	v_add_f64 v[12:13], v[12:13], -v[16:17]
	v_fma_f64 v[22:23], v[18:19], v[22:23], s[12:13]
	s_mov_b32 s12, 0xbe58ef7f
	s_mov_b32 s13, 0x410cc160
	v_fma_f64 v[26:27], v[24:25], v[26:27], s[12:13]
	s_mov_b32 s12, 0x9b27acf1
	s_mov_b32 s13, 0x3fd24924
	;; [unrolled: 3-line block ×3, first 2 shown]
	v_ldexp_f64 v[12:13], v[12:13], 1
	v_fma_f64 v[22:23], v[18:19], v[22:23], s[12:13]
	s_mov_b32 s12, 0x62f9b6c5
	s_mov_b32 s13, 0x41d2d2be
	v_fma_f64 v[30:31], v[24:25], 0, s[12:13]
	v_fma_f64 v[26:27], v[24:25], v[26:27], s[14:15]
	s_mov_b32 s12, 0x998ef7b6
	s_mov_b32 s13, 0x3fd99999
	;; [unrolled: 1-line block ×4, first 2 shown]
	v_fma_f64 v[28:29], v[24:25], v[28:29], s[16:17]
	s_mov_b32 s16, 0x8076ffa8
	s_mov_b32 s17, 0x429146fb
	v_fma_f64 v[22:23], v[18:19], v[22:23], s[12:13]
	s_mov_b32 s12, 0x58836521
	s_mov_b32 s13, 0xc262d72d
	v_fma_f64 v[30:31], v[24:25], v[30:31], s[12:13]
	v_fma_f64 v[26:27], v[24:25], v[26:27], s[14:15]
	s_mov_b32 s12, 0xfda99316
	s_mov_b32 s14, 0x4cda4fc5
	;; [unrolled: 1-line block ×4, first 2 shown]
	v_fma_f64 v[28:29], v[24:25], v[28:29], s[16:17]
	s_mov_b32 s16, 0x3eccf45f
	s_mov_b32 s17, 0x43064b0a
	v_fma_f64 v[18:19], v[18:19], v[22:23], s[6:7]
	s_mov_b32 s6, 0xb0910fef
	s_mov_b32 s7, 0x42da0954
	v_fma_f64 v[22:23], v[24:25], v[30:31], s[6:7]
	v_fma_f64 v[26:27], v[24:25], v[26:27], s[12:13]
	;; [unrolled: 1-line block ×3, first 2 shown]
	s_mov_b32 s6, 0x37a1b083
	s_mov_b32 s12, 0xd71d1e4e
	;; [unrolled: 1-line block ×6, first 2 shown]
	v_fma_f64 v[28:29], v[24:25], v[28:29], s[16:17]
	s_mov_b32 s16, 0xf4653f81
	s_mov_b32 s17, 0x4373e0bf
	v_mul_f64 v[18:19], v[32:33], v[18:19]
	v_subrev_co_ci_u32_e64 v32, null, 0, v38, vcc_lo
	v_fma_f64 v[22:23], v[24:25], v[22:23], s[6:7]
	v_fma_f64 v[26:27], v[24:25], v[26:27], s[12:13]
	;; [unrolled: 1-line block ×3, first 2 shown]
	v_cvt_f64_i32_e32 v[32:33], v32
	s_mov_b32 s6, 0xb7366b1
	s_mov_b32 s12, 0xc547a488
	;; [unrolled: 1-line block ×6, first 2 shown]
	v_fma_f64 v[28:29], v[24:25], v[28:29], s[16:17]
	s_mov_b32 s16, 0xa697c482
	s_mov_b32 s17, 0x432a2b42
	v_add_f64 v[20:21], v[36:37], v[18:19]
	v_fma_f64 v[22:23], v[24:25], v[22:23], s[6:7]
	v_fma_f64 v[26:27], v[24:25], v[26:27], s[12:13]
	;; [unrolled: 1-line block ×3, first 2 shown]
	v_mul_f64 v[38:39], v[32:33], s[18:19]
	s_mov_b32 s6, 0x90f6747f
	s_mov_b32 s12, 0x5dde2b17
	;; [unrolled: 1-line block ×6, first 2 shown]
	v_add_f64 v[16:17], v[20:21], -v[36:37]
	v_fma_f64 v[22:23], v[24:25], v[22:23], s[12:13]
	v_fma_f64 v[26:27], v[24:25], v[26:27], s[6:7]
	;; [unrolled: 1-line block ×4, first 2 shown]
	v_fma_f64 v[28:29], v[32:33], s[18:19], -v[38:39]
	s_mov_b32 s6, 0x3b39803f
	s_mov_b32 s7, 0x3c7abc9e
	v_add_f64 v[16:17], v[18:19], -v[16:17]
	v_div_scale_f64 v[18:19], null, v[26:27], v[26:27], v[22:23]
	v_div_scale_f64 v[36:37], null, v[24:25], v[24:25], v[30:31]
	v_fma_f64 v[28:29], v[32:33], s[6:7], v[28:29]
	s_mov_b32 s6, 0x4189822c
	s_mov_b32 s7, 0xc02d5d2b
	v_add_f64 v[12:13], v[12:13], v[16:17]
	v_rcp_f64_e32 v[16:17], v[18:19]
	v_rcp_f64_e32 v[32:33], v[36:37]
	v_add_f64 v[48:49], v[38:39], v[28:29]
	v_add_f64 v[50:51], v[20:21], v[12:13]
	v_fma_f64 v[52:53], -v[18:19], v[16:17], 1.0
	v_fma_f64 v[54:55], -v[36:37], v[32:33], 1.0
	v_add_f64 v[38:39], v[48:49], -v[38:39]
	v_add_f64 v[64:65], v[48:49], v[50:51]
	v_add_f64 v[20:21], v[50:51], -v[20:21]
	v_fma_f64 v[16:17], v[16:17], v[52:53], v[16:17]
	v_fma_f64 v[32:33], v[32:33], v[54:55], v[32:33]
	v_div_scale_f64 v[54:55], null, v[8:9], v[8:9], -1.0
	v_add_f64 v[28:29], v[28:29], -v[38:39]
	v_div_scale_f64 v[38:39], vcc_lo, v[22:23], v[26:27], v[22:23]
	v_add_f64 v[52:53], v[64:65], -v[48:49]
	v_add_f64 v[12:13], v[12:13], -v[20:21]
	v_fma_f64 v[66:67], -v[18:19], v[16:17], 1.0
	v_fma_f64 v[68:69], -v[36:37], v[32:33], 1.0
	v_rcp_f64_e32 v[80:81], v[54:55]
	v_add_f64 v[70:71], v[64:65], -v[52:53]
	v_add_f64 v[20:21], v[50:51], -v[52:53]
	v_fma_f64 v[16:17], v[16:17], v[66:67], v[16:17]
	v_div_scale_f64 v[66:67], s5, v[30:31], v[24:25], v[30:31]
	v_fma_f64 v[32:33], v[32:33], v[68:69], v[32:33]
	v_fma_f64 v[50:51], -v[54:55], v[80:81], 1.0
	v_add_f64 v[48:49], v[48:49], -v[70:71]
	v_add_f64 v[70:71], v[28:29], v[12:13]
	v_mul_f64 v[52:53], v[38:39], v[16:17]
	v_mul_f64 v[68:69], v[66:67], v[32:33]
	v_add_f64 v[20:21], v[20:21], v[48:49]
	v_fma_f64 v[48:49], v[80:81], v[50:51], v[80:81]
	v_fma_f64 v[18:19], -v[18:19], v[52:53], v[38:39]
	v_add_f64 v[38:39], v[70:71], -v[28:29]
	v_fma_f64 v[36:37], -v[36:37], v[68:69], v[66:67]
	v_add_f64 v[20:21], v[70:71], v[20:21]
	v_fma_f64 v[50:51], -v[54:55], v[48:49], 1.0
	v_div_fmas_f64 v[16:17], v[18:19], v[16:17], v[52:53]
	s_mov_b32 vcc_lo, s5
	v_add_f64 v[12:13], v[12:13], -v[38:39]
	v_div_fmas_f64 v[18:19], v[36:37], v[32:33], v[68:69]
	v_add_f64 v[32:33], v[70:71], -v[38:39]
	v_div_scale_f64 v[52:53], vcc_lo, -1.0, v[8:9], -1.0
	v_add_f64 v[36:37], v[64:65], v[20:21]
	v_fma_f64 v[48:49], v[48:49], v[50:51], v[48:49]
	v_div_fixup_f64 v[16:17], v[16:17], v[26:27], v[22:23]
	v_div_fixup_f64 v[18:19], v[18:19], v[24:25], v[30:31]
	v_add_f64 v[24:25], v[28:29], -v[32:33]
	v_fma_f64 v[32:33], v[8:9], v[8:9], s[6:7]
	s_mov_b32 s6, 0x6072a432
	s_mov_b32 s7, 0xc0489bf6
	v_add_f64 v[28:29], v[36:37], -v[64:65]
	v_mul_f64 v[30:31], v[52:53], v[48:49]
	v_mul_f64 v[18:19], v[8:9], v[18:19]
	v_add_f64 v[12:13], v[12:13], v[24:25]
	v_add_f64 v[20:21], v[20:21], -v[28:29]
	v_fma_f64 v[24:25], -v[54:55], v[30:31], v[52:53]
	v_fma_f64 v[28:29], v[8:9], v[8:9], s[6:7]
	s_mov_b32 s6, 0x6dc9c883
	s_mov_b32 s7, 0x3fe45f30
	v_mul_f64 v[18:19], v[32:33], v[18:19]
	v_add_f64 v[12:13], v[12:13], v[20:21]
	v_div_fmas_f64 v[20:21], v[24:25], v[48:49], v[30:31]
	v_mul_f64 v[18:19], v[28:29], v[18:19]
	v_add_f64 v[12:13], v[36:37], v[12:13]
	v_div_fixup_f64 v[20:21], v[20:21], v[8:9], -1.0
	v_fma_f64 v[12:13], v[18:19], v[12:13], v[20:21]
	v_mul_f64 v[12:13], v[12:13], s[6:7]
	v_fma_f64 v[12:13], v[8:9], v[16:17], v[12:13]
.LBB0_49:
	s_or_b32 exec_lo, exec_lo, s10
.LBB0_50:
	s_or_b32 exec_lo, exec_lo, s9
                                        ; implicit-def: $vgpr8_vgpr9
.LBB0_51:
	s_andn2_saveexec_b32 s42, s8
	s_cbranch_execz .LBB0_61
; %bb.52:
	s_mov_b32 s6, 0x7f3321d2
	s_mov_b32 s7, 0xc002d97c
                                        ; implicit-def: $vgpr32
                                        ; implicit-def: $vgpr16_vgpr17
                                        ; implicit-def: $vgpr18_vgpr19
	v_add_f64 v[12:13], v[8:9], s[6:7]
	v_cmp_ngt_f64_e64 s5, 0x41d00000, |v[12:13]|
	v_trig_preop_f64 v[28:29], |v[12:13]|, 0
	v_trig_preop_f64 v[26:27], |v[12:13]|, 1
	v_ldexp_f64 v[30:31], |v[12:13]|, 0xffffff80
	v_trig_preop_f64 v[24:25], |v[12:13]|, 2
	v_and_b32_e32 v36, 0x7fffffff, v13
	s_and_saveexec_b32 s6, s5
	s_xor_b32 s6, exec_lo, s6
	s_cbranch_execz .LBB0_54
; %bb.53:
	v_cmp_le_f64_e64 vcc_lo, 0x7b000000, |v[12:13]|
	v_mov_b32_e32 v64, 0
	s_mov_b32 s8, 0x54442d18
	s_mov_b32 s9, 0x3ff921fb
	;; [unrolled: 1-line block ×4, first 2 shown]
	v_cndmask_b32_e32 v17, v36, v31, vcc_lo
	v_cndmask_b32_e32 v16, v12, v30, vcc_lo
	v_mul_f64 v[18:19], v[28:29], v[16:17]
	v_mul_f64 v[20:21], v[26:27], v[16:17]
	;; [unrolled: 1-line block ×3, first 2 shown]
	v_fma_f64 v[22:23], v[28:29], v[16:17], -v[18:19]
	v_fma_f64 v[54:55], v[26:27], v[16:17], -v[20:21]
	;; [unrolled: 1-line block ×3, first 2 shown]
	v_add_f64 v[32:33], v[20:21], v[22:23]
	v_add_f64 v[37:38], v[32:33], -v[20:21]
	v_add_f64 v[50:51], v[18:19], v[32:33]
	v_add_f64 v[48:49], v[32:33], -v[37:38]
	v_add_f64 v[22:23], v[22:23], -v[37:38]
	v_ldexp_f64 v[37:38], v[50:51], -2
	v_add_f64 v[18:19], v[50:51], -v[18:19]
	v_add_f64 v[20:21], v[20:21], -v[48:49]
	v_add_f64 v[48:49], v[52:53], v[54:55]
	v_cmp_neq_f64_e64 vcc_lo, 0x7ff00000, |v[37:38]|
	v_add_f64 v[18:19], v[32:33], -v[18:19]
	v_add_f64 v[20:21], v[22:23], v[20:21]
	v_fract_f64_e32 v[22:23], v[37:38]
	v_add_f64 v[32:33], v[48:49], v[20:21]
	v_ldexp_f64 v[22:23], v[22:23], 2
	v_add_f64 v[37:38], v[18:19], v[32:33]
	v_cndmask_b32_e32 v23, 0, v23, vcc_lo
	v_cndmask_b32_e32 v22, 0, v22, vcc_lo
	v_add_f64 v[50:51], v[37:38], v[22:23]
	v_add_f64 v[18:19], v[37:38], -v[18:19]
	v_cmp_gt_f64_e32 vcc_lo, 0, v[50:51]
	v_add_f64 v[50:51], v[48:49], -v[52:53]
	v_add_f64 v[18:19], v[32:33], -v[18:19]
	v_cndmask_b32_e64 v65, 0, 0x40100000, vcc_lo
	v_add_f64 v[69:70], v[48:49], -v[50:51]
	v_add_f64 v[50:51], v[54:55], -v[50:51]
	v_add_f64 v[22:23], v[22:23], v[64:65]
	v_add_f64 v[65:66], v[32:33], -v[48:49]
	v_add_f64 v[54:55], v[52:53], -v[69:70]
	v_add_f64 v[67:68], v[37:38], v[22:23]
	;; [unrolled: 3-line block ×3, first 2 shown]
	v_cvt_i32_f64_e32 v39, v[67:68]
	v_add_f64 v[48:49], v[48:49], -v[80:81]
	v_cvt_f64_i32_e32 v[65:66], v39
	v_add_f64 v[20:21], v[20:21], v[48:49]
	v_add_f64 v[22:23], v[22:23], -v[65:66]
	v_add_f64 v[20:21], v[50:51], v[20:21]
	v_add_f64 v[48:49], v[37:38], v[22:23]
	;; [unrolled: 1-line block ×3, first 2 shown]
	v_add_f64 v[20:21], v[48:49], -v[22:23]
	v_cmp_le_f64_e32 vcc_lo, 0.5, v[48:49]
	v_add_f64 v[16:17], v[18:19], v[16:17]
	v_add_f64 v[18:19], v[37:38], -v[20:21]
	v_cndmask_b32_e64 v65, 0, 0x3ff00000, vcc_lo
	v_add_co_ci_u32_e64 v32, null, 0, v39, vcc_lo
	v_add_f64 v[16:17], v[16:17], v[18:19]
	v_add_f64 v[18:19], v[48:49], -v[64:65]
	v_add_f64 v[20:21], v[18:19], v[16:17]
	v_mul_f64 v[22:23], v[20:21], s[8:9]
	v_add_f64 v[18:19], v[20:21], -v[18:19]
	v_fma_f64 v[37:38], v[20:21], s[8:9], -v[22:23]
	v_add_f64 v[16:17], v[16:17], -v[18:19]
	v_fma_f64 v[18:19], v[20:21], s[10:11], v[37:38]
	v_fma_f64 v[18:19], v[16:17], s[8:9], v[18:19]
	v_add_f64 v[16:17], v[22:23], v[18:19]
	v_add_f64 v[20:21], v[16:17], -v[22:23]
	v_add_f64 v[18:19], v[18:19], -v[20:21]
	s_andn2_saveexec_b32 s6, s6
	s_cbranch_execz .LBB0_56
	s_branch .LBB0_55
.LBB0_54:
	s_andn2_saveexec_b32 s6, s6
	s_cbranch_execz .LBB0_56
.LBB0_55:
	s_mov_b32 s8, 0x6dc9c883
	s_mov_b32 s9, 0x3fe45f30
	;; [unrolled: 1-line block ×3, first 2 shown]
	v_mul_f64 v[16:17], |v[12:13]|, s[8:9]
	s_mov_b32 s8, 0x54442d18
	s_mov_b32 s9, 0xbff921fb
	;; [unrolled: 1-line block ×3, first 2 shown]
	v_rndne_f64_e32 v[20:21], v[16:17]
	v_fma_f64 v[16:17], v[20:21], s[8:9], |v[12:13]|
	v_mul_f64 v[18:19], v[20:21], s[10:11]
	s_mov_b32 s8, 0x252049c0
	s_mov_b32 s9, 0xb97b839a
	v_fma_f64 v[32:33], v[20:21], s[10:11], v[16:17]
	v_add_f64 v[22:23], v[16:17], v[18:19]
	s_mov_b32 s11, 0x3c91a626
	v_add_f64 v[16:17], v[16:17], -v[22:23]
	v_add_f64 v[22:23], v[22:23], -v[32:33]
	v_add_f64 v[16:17], v[16:17], v[18:19]
	v_fma_f64 v[18:19], v[20:21], s[10:11], v[18:19]
	v_add_f64 v[16:17], v[22:23], v[16:17]
	v_add_f64 v[16:17], v[16:17], -v[18:19]
	v_fma_f64 v[18:19], v[20:21], s[8:9], v[16:17]
	v_add_f64 v[16:17], v[32:33], v[18:19]
	v_add_f64 v[22:23], v[16:17], -v[32:33]
	v_cvt_i32_f64_e32 v32, v[20:21]
	v_add_f64 v[18:19], v[18:19], -v[22:23]
.LBB0_56:
	s_or_b32 exec_lo, exec_lo, s6
                                        ; implicit-def: $vgpr33
                                        ; implicit-def: $vgpr20_vgpr21
                                        ; implicit-def: $vgpr22_vgpr23
	s_and_saveexec_b32 s6, s5
	s_xor_b32 s5, exec_lo, s6
	s_cbranch_execz .LBB0_58
; %bb.57:
	v_cmp_le_f64_e64 vcc_lo, 0x7b000000, |v[12:13]|
	v_mov_b32_e32 v54, 0
	s_mov_b32 s6, 0x54442d18
	s_mov_b32 s7, 0x3ff921fb
	;; [unrolled: 1-line block ×4, first 2 shown]
	v_cndmask_b32_e32 v21, v36, v31, vcc_lo
	v_cndmask_b32_e32 v20, v12, v30, vcc_lo
	v_mul_f64 v[22:23], v[28:29], v[20:21]
	v_mul_f64 v[30:31], v[26:27], v[20:21]
	;; [unrolled: 1-line block ×3, first 2 shown]
	v_fma_f64 v[28:29], v[28:29], v[20:21], -v[22:23]
	v_fma_f64 v[26:27], v[26:27], v[20:21], -v[30:31]
	;; [unrolled: 1-line block ×3, first 2 shown]
	v_add_f64 v[36:37], v[30:31], v[28:29]
	v_add_f64 v[38:39], v[36:37], -v[30:31]
	v_add_f64 v[50:51], v[22:23], v[36:37]
	v_add_f64 v[48:49], v[36:37], -v[38:39]
	v_add_f64 v[28:29], v[28:29], -v[38:39]
	v_ldexp_f64 v[38:39], v[50:51], -2
	v_add_f64 v[22:23], v[50:51], -v[22:23]
	v_add_f64 v[30:31], v[30:31], -v[48:49]
	v_add_f64 v[48:49], v[52:53], v[26:27]
	v_cmp_neq_f64_e64 vcc_lo, 0x7ff00000, |v[38:39]|
	v_add_f64 v[22:23], v[36:37], -v[22:23]
	v_add_f64 v[28:29], v[28:29], v[30:31]
	v_fract_f64_e32 v[30:31], v[38:39]
	v_add_f64 v[36:37], v[48:49], v[28:29]
	v_ldexp_f64 v[30:31], v[30:31], 2
	v_add_f64 v[38:39], v[22:23], v[36:37]
	v_cndmask_b32_e32 v31, 0, v31, vcc_lo
	v_cndmask_b32_e32 v30, 0, v30, vcc_lo
	v_add_f64 v[64:65], v[36:37], -v[48:49]
	v_add_f64 v[50:51], v[38:39], v[30:31]
	v_add_f64 v[22:23], v[38:39], -v[22:23]
	v_add_f64 v[70:71], v[36:37], -v[64:65]
	;; [unrolled: 1-line block ×3, first 2 shown]
	v_cmp_gt_f64_e32 vcc_lo, 0, v[50:51]
	v_add_f64 v[50:51], v[48:49], -v[52:53]
	v_add_f64 v[22:23], v[36:37], -v[22:23]
	v_cndmask_b32_e64 v55, 0, 0x40100000, vcc_lo
	v_add_f64 v[68:69], v[48:49], -v[50:51]
	v_add_f64 v[26:27], v[26:27], -v[50:51]
	v_add_f64 v[48:49], v[48:49], -v[70:71]
	v_add_f64 v[30:31], v[30:31], v[54:55]
	v_add_f64 v[50:51], v[52:53], -v[68:69]
	v_add_f64 v[28:29], v[28:29], v[48:49]
	v_add_f64 v[66:67], v[38:39], v[30:31]
	v_add_f64 v[26:27], v[26:27], v[50:51]
	v_cvt_i32_f64_e32 v33, v[66:67]
	v_add_f64 v[24:25], v[26:27], v[28:29]
	v_cvt_f64_i32_e32 v[64:65], v33
	v_add_f64 v[20:21], v[20:21], v[24:25]
	v_add_f64 v[30:31], v[30:31], -v[64:65]
	v_add_f64 v[20:21], v[22:23], v[20:21]
	v_add_f64 v[26:27], v[38:39], v[30:31]
	v_add_f64 v[24:25], v[26:27], -v[30:31]
	v_cmp_le_f64_e32 vcc_lo, 0.5, v[26:27]
	v_add_f64 v[22:23], v[38:39], -v[24:25]
	v_cndmask_b32_e64 v55, 0, 0x3ff00000, vcc_lo
	v_add_co_ci_u32_e64 v33, null, 0, v33, vcc_lo
	v_add_f64 v[20:21], v[20:21], v[22:23]
	v_add_f64 v[22:23], v[26:27], -v[54:55]
	v_add_f64 v[24:25], v[22:23], v[20:21]
	v_mul_f64 v[26:27], v[24:25], s[6:7]
	v_add_f64 v[22:23], v[24:25], -v[22:23]
	v_fma_f64 v[28:29], v[24:25], s[6:7], -v[26:27]
	v_add_f64 v[20:21], v[20:21], -v[22:23]
	v_fma_f64 v[22:23], v[24:25], s[8:9], v[28:29]
	v_fma_f64 v[22:23], v[20:21], s[6:7], v[22:23]
	v_add_f64 v[20:21], v[26:27], v[22:23]
	v_add_f64 v[24:25], v[20:21], -v[26:27]
	v_add_f64 v[22:23], v[22:23], -v[24:25]
	s_andn2_saveexec_b32 s5, s5
	s_cbranch_execnz .LBB0_59
	s_branch .LBB0_60
.LBB0_58:
	s_andn2_saveexec_b32 s5, s5
	s_cbranch_execz .LBB0_60
.LBB0_59:
	s_mov_b32 s6, 0x6dc9c883
	s_mov_b32 s7, 0x3fe45f30
	s_mov_b32 s9, 0xbc91a626
	v_mul_f64 v[20:21], |v[12:13]|, s[6:7]
	s_mov_b32 s6, 0x54442d18
	s_mov_b32 s7, 0xbff921fb
	;; [unrolled: 1-line block ×3, first 2 shown]
	v_rndne_f64_e32 v[24:25], v[20:21]
	v_fma_f64 v[20:21], v[24:25], s[6:7], |v[12:13]|
	v_mul_f64 v[22:23], v[24:25], s[8:9]
	s_mov_b32 s6, 0x252049c0
	s_mov_b32 s7, 0xb97b839a
	v_cvt_i32_f64_e32 v33, v[24:25]
	v_fma_f64 v[28:29], v[24:25], s[8:9], v[20:21]
	v_add_f64 v[26:27], v[20:21], v[22:23]
	s_mov_b32 s9, 0x3c91a626
	v_add_f64 v[20:21], v[20:21], -v[26:27]
	v_add_f64 v[26:27], v[26:27], -v[28:29]
	v_add_f64 v[20:21], v[20:21], v[22:23]
	v_fma_f64 v[22:23], v[24:25], s[8:9], v[22:23]
	v_add_f64 v[20:21], v[26:27], v[20:21]
	v_add_f64 v[20:21], v[20:21], -v[22:23]
	v_fma_f64 v[22:23], v[24:25], s[6:7], v[20:21]
	v_add_f64 v[20:21], v[28:29], v[22:23]
	v_add_f64 v[26:27], v[20:21], -v[28:29]
	v_add_f64 v[22:23], v[22:23], -v[26:27]
.LBB0_60:
	s_or_b32 exec_lo, exec_lo, s5
	v_div_scale_f64 v[24:25], null, v[8:9], v[8:9], 0x40140000
	s_mov_b32 s6, 0x4c6c651b
	s_mov_b32 s7, 0x3f48f92c
	;; [unrolled: 1-line block ×20, first 2 shown]
	v_rcp_f64_e32 v[26:27], v[24:25]
	s_mov_b32 s26, 0x11110bb3
	s_mov_b32 s27, 0x3f811111
	;; [unrolled: 1-line block ×4, first 2 shown]
	v_cmp_class_f64_e64 s5, v[12:13], 0x1f8
	v_fma_f64 v[28:29], -v[24:25], v[26:27], 1.0
	v_fma_f64 v[26:27], v[26:27], v[28:29], v[26:27]
	v_fma_f64 v[28:29], -v[24:25], v[26:27], 1.0
	v_fma_f64 v[26:27], v[26:27], v[28:29], v[26:27]
	v_div_scale_f64 v[28:29], vcc_lo, 0x40140000, v[8:9], 0x40140000
	v_mul_f64 v[30:31], v[28:29], v[26:27]
	v_fma_f64 v[24:25], -v[24:25], v[30:31], v[28:29]
	v_div_fmas_f64 v[24:25], v[24:25], v[26:27], v[30:31]
	v_div_fixup_f64 v[24:25], v[24:25], v[8:9], 0x40140000
	v_mul_f64 v[26:27], v[24:25], v[24:25]
	v_fma_f64 v[28:29], v[26:27], 0, s[6:7]
	s_mov_b32 s6, 0xa3fec4b6
	s_mov_b32 s7, 0x3fb2b948
	v_fma_f64 v[28:29], v[26:27], v[28:29], s[6:7]
	s_mov_b32 s6, 0xc21596d6
	s_mov_b32 s7, 0x3ff208fe
	;; [unrolled: 3-line block ×13, first 2 shown]
	v_fma_f64 v[30:31], v[26:27], v[30:31], 1.0
	v_fma_f64 v[36:37], v[26:27], v[36:37], s[6:7]
	s_mov_b32 s6, 0x9acf1c67
	s_mov_b32 s7, 0x4052f4b9
	v_fma_f64 v[36:37], v[26:27], v[36:37], s[6:7]
	s_mov_b32 s6, 0x47aa180d
	s_mov_b32 s7, 0x4076ec79
	;; [unrolled: 3-line block ×13, first 2 shown]
	v_fma_f64 v[38:39], v[26:27], v[38:39], s[6:7]
	v_fma_f64 v[26:27], v[26:27], v[28:29], 1.0
	s_mov_b32 s6, 0x9037ab78
	s_mov_b32 s7, 0x3e21eeb6
	v_div_scale_f64 v[28:29], null, v[30:31], v[30:31], v[26:27]
	v_rcp_f64_e32 v[48:49], v[28:29]
	v_fma_f64 v[50:51], -v[28:29], v[48:49], 1.0
	v_fma_f64 v[48:49], v[48:49], v[50:51], v[48:49]
	v_fma_f64 v[50:51], -v[28:29], v[48:49], 1.0
	v_fma_f64 v[48:49], v[48:49], v[50:51], v[48:49]
	v_div_scale_f64 v[50:51], vcc_lo, v[26:27], v[30:31], v[26:27]
	v_mul_f64 v[52:53], v[50:51], v[48:49]
	v_fma_f64 v[28:29], -v[28:29], v[52:53], v[50:51]
	v_div_fmas_f64 v[28:29], v[28:29], v[48:49], v[52:53]
	v_div_fixup_f64 v[26:27], v[28:29], v[30:31], v[26:27]
	v_mul_f64 v[28:29], v[16:17], v[16:17]
	v_mul_f64 v[30:31], v[28:29], 0.5
	v_fma_f64 v[52:53], v[28:29], s[8:9], s[6:7]
	v_add_f64 v[48:49], -v[30:31], 1.0
	v_fma_f64 v[52:53], v[28:29], v[52:53], s[10:11]
	v_add_f64 v[50:51], -v[48:49], 1.0
	v_fma_f64 v[52:53], v[28:29], v[52:53], s[16:17]
	v_add_f64 v[30:31], v[50:51], -v[30:31]
	v_fma_f64 v[52:53], v[28:29], v[52:53], s[18:19]
	v_mul_f64 v[50:51], v[28:29], v[28:29]
	v_fma_f64 v[30:31], v[16:17], -v[18:19], v[30:31]
	v_fma_f64 v[52:53], v[28:29], v[52:53], s[20:21]
	v_fma_f64 v[30:31], v[50:51], v[52:53], v[30:31]
	v_mul_f64 v[50:51], v[16:17], -v[28:29]
	v_mul_f64 v[52:53], v[18:19], 0.5
	v_add_f64 v[30:31], v[48:49], v[30:31]
	v_fma_f64 v[48:49], v[28:29], s[14:15], s[12:13]
	v_fma_f64 v[48:49], v[28:29], v[48:49], s[22:23]
	;; [unrolled: 1-line block ×5, first 2 shown]
	v_fma_f64 v[18:19], v[28:29], v[48:49], -v[18:19]
	v_fma_f64 v[18:19], v[50:51], s[28:29], v[18:19]
	v_add_f64 v[16:17], v[16:17], -v[18:19]
	v_and_b32_e32 v18, 1, v32
	v_cmp_eq_u32_e32 vcc_lo, 0, v18
	v_lshlrev_b32_e32 v18, 30, v32
	v_xor_b32_e32 v18, v18, v13
	v_and_b32_e32 v18, 0x80000000, v18
	v_cndmask_b32_e32 v17, v31, v17, vcc_lo
	v_cndmask_b32_e32 v16, v30, v16, vcc_lo
	v_xor_b32_e32 v17, v17, v18
	v_cndmask_b32_e64 v12, 0, v16, s5
	v_cndmask_b32_e64 v13, 0x7ff80000, v17, s5
	v_div_scale_f64 v[16:17], null, v[38:39], v[38:39], v[36:37]
	v_rcp_f64_e32 v[18:19], v[16:17]
	v_fma_f64 v[28:29], -v[16:17], v[18:19], 1.0
	v_fma_f64 v[18:19], v[18:19], v[28:29], v[18:19]
	v_fma_f64 v[28:29], -v[16:17], v[18:19], 1.0
	v_fma_f64 v[18:19], v[18:19], v[28:29], v[18:19]
	v_div_scale_f64 v[28:29], vcc_lo, v[36:37], v[38:39], v[36:37]
	v_mul_f64 v[30:31], v[28:29], v[18:19]
	v_fma_f64 v[16:17], -v[16:17], v[30:31], v[28:29]
	v_div_fmas_f64 v[16:17], v[16:17], v[18:19], v[30:31]
	v_mul_f64 v[18:19], v[20:21], v[20:21]
	v_div_fixup_f64 v[16:17], v[16:17], v[38:39], v[36:37]
	v_fma_f64 v[36:37], v[18:19], s[8:9], s[6:7]
	s_mov_b32 s6, 0x33d43651
	s_mov_b32 s7, 0x3fe98845
	v_mul_f64 v[16:17], v[24:25], v[16:17]
	v_mul_f64 v[24:25], v[18:19], 0.5
	v_fma_f64 v[36:37], v[18:19], v[36:37], s[10:11]
	v_add_f64 v[28:29], -v[24:25], 1.0
	v_fma_f64 v[36:37], v[18:19], v[36:37], s[16:17]
	v_add_f64 v[30:31], -v[28:29], 1.0
	v_fma_f64 v[36:37], v[18:19], v[36:37], s[18:19]
	v_add_f64 v[24:25], v[30:31], -v[24:25]
	v_mul_f64 v[30:31], v[18:19], v[18:19]
	v_fma_f64 v[36:37], v[18:19], v[36:37], s[20:21]
	v_fma_f64 v[24:25], v[20:21], -v[22:23], v[24:25]
	v_fma_f64 v[24:25], v[30:31], v[36:37], v[24:25]
	v_mul_f64 v[30:31], v[20:21], -v[18:19]
	v_mul_f64 v[36:37], v[22:23], 0.5
	v_add_f64 v[24:25], v[28:29], v[24:25]
	v_fma_f64 v[28:29], v[18:19], s[14:15], s[12:13]
	v_fma_f64 v[28:29], v[18:19], v[28:29], s[22:23]
	;; [unrolled: 1-line block ×5, first 2 shown]
	v_fma_f64 v[18:19], v[18:19], v[28:29], -v[22:23]
	v_fma_f64 v[18:19], v[30:31], s[28:29], v[18:19]
	v_add_f64 v[18:19], v[20:21], -v[18:19]
	v_and_b32_e32 v20, 1, v33
	v_cmp_eq_u32_e32 vcc_lo, 0, v20
	v_lshlrev_b32_e32 v20, 30, v33
	v_and_b32_e32 v20, 0x80000000, v20
	v_xor_b32_e32 v19, 0x80000000, v19
	v_cndmask_b32_e32 v18, v18, v24, vcc_lo
	v_cndmask_b32_e32 v19, v19, v25, vcc_lo
	v_cndmask_b32_e64 v18, 0, v18, s5
	v_cmp_gt_f64_e32 vcc_lo, 0x10000000, v[8:9]
	v_xor_b32_e32 v19, v19, v20
	v_cndmask_b32_e64 v19, 0x7ff80000, v19, s5
	v_mul_f64 v[16:17], v[16:17], v[18:19]
	v_fma_f64 v[12:13], v[26:27], v[12:13], v[16:17]
	v_cndmask_b32_e64 v16, 0, 0x100, vcc_lo
	v_ldexp_f64 v[8:9], v[8:9], v16
	v_mul_f64 v[12:13], v[12:13], s[6:7]
	v_rsq_f64_e32 v[16:17], v[8:9]
	v_mul_f64 v[18:19], v[8:9], v[16:17]
	v_mul_f64 v[16:17], v[16:17], 0.5
	v_fma_f64 v[20:21], -v[16:17], v[18:19], 0.5
	v_fma_f64 v[18:19], v[18:19], v[20:21], v[18:19]
	v_fma_f64 v[16:17], v[16:17], v[20:21], v[16:17]
	v_fma_f64 v[22:23], -v[18:19], v[18:19], v[8:9]
	v_fma_f64 v[18:19], v[22:23], v[16:17], v[18:19]
	v_fma_f64 v[20:21], -v[18:19], v[18:19], v[8:9]
	v_fma_f64 v[16:17], v[20:21], v[16:17], v[18:19]
	v_cndmask_b32_e64 v18, 0, 0xffffff80, vcc_lo
	v_cmp_class_f64_e64 vcc_lo, v[8:9], 0x260
	v_ldexp_f64 v[16:17], v[16:17], v18
	v_cndmask_b32_e32 v9, v17, v9, vcc_lo
	v_cndmask_b32_e32 v8, v16, v8, vcc_lo
	v_div_scale_f64 v[16:17], null, v[8:9], v[8:9], v[12:13]
	v_rcp_f64_e32 v[18:19], v[16:17]
	v_fma_f64 v[20:21], -v[16:17], v[18:19], 1.0
	v_fma_f64 v[18:19], v[18:19], v[20:21], v[18:19]
	v_fma_f64 v[20:21], -v[16:17], v[18:19], 1.0
	v_fma_f64 v[18:19], v[18:19], v[20:21], v[18:19]
	v_div_scale_f64 v[20:21], vcc_lo, v[12:13], v[8:9], v[12:13]
	v_mul_f64 v[22:23], v[20:21], v[18:19]
	v_fma_f64 v[16:17], -v[16:17], v[22:23], v[20:21]
	v_div_fmas_f64 v[16:17], v[16:17], v[18:19], v[22:23]
	v_div_fixup_f64 v[12:13], v[16:17], v[8:9], v[12:13]
.LBB0_61:
	s_or_b32 exec_lo, exec_lo, s42
.LBB0_62:
	s_or_b32 exec_lo, exec_lo, s41
	v_add_nc_u32_e32 v8, 0x300, v34
	s_mov_b32 s41, exec_lo
	v_cmpx_lt_i32_e64 v8, v4
	s_cbranch_execz .LBB0_72
; %bb.63:
	s_mov_b32 s5, exec_lo
	v_cmpx_ge_f64_e32 0x40140000, v[6:7]
	s_xor_b32 s8, exec_lo, s5
                                        ; implicit-def: $vgpr10_vgpr11
	s_cbranch_execz .LBB0_69
; %bb.64:
	v_mov_b32_e32 v10, 0
	v_mov_b32_e32 v11, 0xfff00000
	s_mov_b32 s9, exec_lo
	v_cmpx_neq_f64_e32 0, v[6:7]
	s_cbranch_execz .LBB0_68
; %bb.65:
	v_mov_b32_e32 v10, 0
	v_mov_b32_e32 v11, 0x7ff80000
	s_mov_b32 s10, exec_lo
	v_cmpx_nge_f64_e32 0, v[6:7]
	s_cbranch_execz .LBB0_67
; %bb.66:
	v_frexp_mant_f64_e32 v[8:9], v[6:7]
	s_mov_b32 s7, 0x3fe55555
	s_mov_b32 s6, 0x55555555
	;; [unrolled: 1-line block ×8, first 2 shown]
	v_frexp_exp_i32_f64_e32 v36, v[6:7]
	s_mov_b32 s18, 0xfefa39ef
	s_mov_b32 s19, 0x3fe62e42
	v_cmp_gt_f64_e32 vcc_lo, s[6:7], v[8:9]
	s_mov_b32 s6, 0x55555780
	v_cndmask_b32_e64 v10, 0, 1, vcc_lo
	v_ldexp_f64 v[8:9], v[8:9], v10
	v_add_f64 v[10:11], v[8:9], 1.0
	v_add_f64 v[20:21], v[8:9], -1.0
	v_rcp_f64_e32 v[16:17], v[10:11]
	v_add_f64 v[22:23], v[10:11], -1.0
	v_add_f64 v[8:9], v[8:9], -v[22:23]
	v_fma_f64 v[18:19], -v[10:11], v[16:17], 1.0
	v_fma_f64 v[16:17], v[18:19], v[16:17], v[16:17]
	v_fma_f64 v[18:19], -v[10:11], v[16:17], 1.0
	v_fma_f64 v[16:17], v[18:19], v[16:17], v[16:17]
	v_mul_f64 v[18:19], v[20:21], v[16:17]
	v_mul_f64 v[24:25], v[10:11], v[18:19]
	v_fma_f64 v[10:11], v[18:19], v[10:11], -v[24:25]
	v_fma_f64 v[8:9], v[18:19], v[8:9], v[10:11]
	v_add_f64 v[10:11], v[24:25], v[8:9]
	v_add_f64 v[22:23], v[20:21], -v[10:11]
	v_add_f64 v[24:25], v[10:11], -v[24:25]
	;; [unrolled: 1-line block ×5, first 2 shown]
	v_add_f64 v[8:9], v[8:9], v[10:11]
	v_add_f64 v[8:9], v[22:23], v[8:9]
	v_mul_f64 v[22:23], v[6:7], v[6:7]
	v_mul_f64 v[8:9], v[16:17], v[8:9]
	v_add_f64 v[10:11], v[18:19], v[8:9]
	v_mul_f64 v[16:17], v[10:11], v[10:11]
	v_ldexp_f64 v[32:33], v[10:11], 1
	v_fma_f64 v[20:21], v[16:17], s[14:15], s[12:13]
	s_mov_b32 s12, 0xd7f4df2e
	s_mov_b32 s13, 0x3fc7474d
	;; [unrolled: 1-line block ×4, first 2 shown]
	v_mul_f64 v[30:31], v[10:11], v[16:17]
	v_fma_f64 v[26:27], v[22:23], 0, s[14:15]
	s_mov_b32 s14, 0xdd701b2
	s_mov_b32 s15, 0x410f5eda
	v_add_f64 v[10:11], v[10:11], -v[18:19]
	v_fma_f64 v[20:21], v[16:17], v[20:21], s[12:13]
	s_mov_b32 s12, 0xa93f7ac2
	s_mov_b32 s13, 0x40829269
	v_fma_f64 v[24:25], v[22:23], 0, s[12:13]
	s_mov_b32 s12, 0x16291751
	s_mov_b32 s13, 0x3fcc71c0
	;; [unrolled: 3-line block ×3, first 2 shown]
	v_add_f64 v[8:9], v[8:9], -v[10:11]
	v_fma_f64 v[20:21], v[16:17], v[20:21], s[12:13]
	s_mov_b32 s12, 0xbe58ef7f
	s_mov_b32 s13, 0x410cc160
	v_fma_f64 v[24:25], v[22:23], v[24:25], s[12:13]
	s_mov_b32 s12, 0x9b27acf1
	s_mov_b32 s13, 0x3fd24924
	;; [unrolled: 3-line block ×3, first 2 shown]
	v_ldexp_f64 v[8:9], v[8:9], 1
	v_fma_f64 v[20:21], v[16:17], v[20:21], s[12:13]
	s_mov_b32 s12, 0x62f9b6c5
	s_mov_b32 s13, 0x41d2d2be
	v_fma_f64 v[28:29], v[22:23], 0, s[12:13]
	v_fma_f64 v[24:25], v[22:23], v[24:25], s[14:15]
	s_mov_b32 s12, 0x998ef7b6
	s_mov_b32 s13, 0x3fd99999
	;; [unrolled: 1-line block ×4, first 2 shown]
	v_fma_f64 v[26:27], v[22:23], v[26:27], s[16:17]
	s_mov_b32 s16, 0x8076ffa8
	s_mov_b32 s17, 0x429146fb
	v_fma_f64 v[20:21], v[16:17], v[20:21], s[12:13]
	s_mov_b32 s12, 0x58836521
	s_mov_b32 s13, 0xc262d72d
	v_fma_f64 v[28:29], v[22:23], v[28:29], s[12:13]
	v_fma_f64 v[24:25], v[22:23], v[24:25], s[14:15]
	s_mov_b32 s12, 0xfda99316
	s_mov_b32 s14, 0x4cda4fc5
	;; [unrolled: 1-line block ×4, first 2 shown]
	v_fma_f64 v[26:27], v[22:23], v[26:27], s[16:17]
	s_mov_b32 s16, 0x3eccf45f
	s_mov_b32 s17, 0x43064b0a
	v_fma_f64 v[16:17], v[16:17], v[20:21], s[6:7]
	s_mov_b32 s6, 0xb0910fef
	s_mov_b32 s7, 0x42da0954
	v_fma_f64 v[20:21], v[22:23], v[28:29], s[6:7]
	v_fma_f64 v[24:25], v[22:23], v[24:25], s[12:13]
	v_fma_f64 v[28:29], v[22:23], 0, s[14:15]
	s_mov_b32 s6, 0x37a1b083
	s_mov_b32 s12, 0xd71d1e4e
	;; [unrolled: 1-line block ×6, first 2 shown]
	v_fma_f64 v[26:27], v[22:23], v[26:27], s[16:17]
	s_mov_b32 s16, 0xf4653f81
	s_mov_b32 s17, 0x4373e0bf
	v_mul_f64 v[16:17], v[30:31], v[16:17]
	v_subrev_co_ci_u32_e64 v30, null, 0, v36, vcc_lo
	v_fma_f64 v[20:21], v[22:23], v[20:21], s[6:7]
	v_fma_f64 v[24:25], v[22:23], v[24:25], s[12:13]
	;; [unrolled: 1-line block ×3, first 2 shown]
	v_cvt_f64_i32_e32 v[30:31], v30
	s_mov_b32 s6, 0xb7366b1
	s_mov_b32 s12, 0xc547a488
	;; [unrolled: 1-line block ×6, first 2 shown]
	v_fma_f64 v[26:27], v[22:23], v[26:27], s[16:17]
	s_mov_b32 s16, 0xa697c482
	s_mov_b32 s17, 0x432a2b42
	v_add_f64 v[18:19], v[32:33], v[16:17]
	v_fma_f64 v[20:21], v[22:23], v[20:21], s[6:7]
	v_fma_f64 v[24:25], v[22:23], v[24:25], s[12:13]
	;; [unrolled: 1-line block ×3, first 2 shown]
	v_mul_f64 v[36:37], v[30:31], s[18:19]
	s_mov_b32 s6, 0x90f6747f
	s_mov_b32 s12, 0x5dde2b17
	;; [unrolled: 1-line block ×6, first 2 shown]
	v_add_f64 v[10:11], v[18:19], -v[32:33]
	v_fma_f64 v[20:21], v[22:23], v[20:21], s[12:13]
	v_fma_f64 v[24:25], v[22:23], v[24:25], s[6:7]
	;; [unrolled: 1-line block ×4, first 2 shown]
	v_fma_f64 v[26:27], v[30:31], s[18:19], -v[36:37]
	s_mov_b32 s6, 0x3b39803f
	s_mov_b32 s7, 0x3c7abc9e
	v_add_f64 v[10:11], v[16:17], -v[10:11]
	v_div_scale_f64 v[16:17], null, v[24:25], v[24:25], v[20:21]
	v_div_scale_f64 v[32:33], null, v[22:23], v[22:23], v[28:29]
	v_fma_f64 v[26:27], v[30:31], s[6:7], v[26:27]
	s_mov_b32 s6, 0x4189822c
	s_mov_b32 s7, 0xc02d5d2b
	v_add_f64 v[8:9], v[8:9], v[10:11]
	v_rcp_f64_e32 v[10:11], v[16:17]
	v_rcp_f64_e32 v[30:31], v[32:33]
	v_add_f64 v[38:39], v[36:37], v[26:27]
	v_add_f64 v[48:49], v[18:19], v[8:9]
	v_fma_f64 v[50:51], -v[16:17], v[10:11], 1.0
	v_fma_f64 v[52:53], -v[32:33], v[30:31], 1.0
	v_add_f64 v[36:37], v[38:39], -v[36:37]
	v_add_f64 v[54:55], v[38:39], v[48:49]
	v_add_f64 v[18:19], v[48:49], -v[18:19]
	v_fma_f64 v[10:11], v[10:11], v[50:51], v[10:11]
	v_fma_f64 v[30:31], v[30:31], v[52:53], v[30:31]
	v_div_scale_f64 v[52:53], null, v[6:7], v[6:7], -1.0
	v_add_f64 v[26:27], v[26:27], -v[36:37]
	v_div_scale_f64 v[36:37], vcc_lo, v[20:21], v[24:25], v[20:21]
	v_add_f64 v[50:51], v[54:55], -v[38:39]
	v_add_f64 v[8:9], v[8:9], -v[18:19]
	v_fma_f64 v[64:65], -v[16:17], v[10:11], 1.0
	v_fma_f64 v[66:67], -v[32:33], v[30:31], 1.0
	v_rcp_f64_e32 v[70:71], v[52:53]
	v_add_f64 v[68:69], v[54:55], -v[50:51]
	v_add_f64 v[18:19], v[48:49], -v[50:51]
	v_fma_f64 v[10:11], v[10:11], v[64:65], v[10:11]
	v_div_scale_f64 v[64:65], s5, v[28:29], v[22:23], v[28:29]
	v_fma_f64 v[30:31], v[30:31], v[66:67], v[30:31]
	v_fma_f64 v[48:49], -v[52:53], v[70:71], 1.0
	v_add_f64 v[38:39], v[38:39], -v[68:69]
	v_add_f64 v[68:69], v[26:27], v[8:9]
	v_mul_f64 v[50:51], v[36:37], v[10:11]
	v_mul_f64 v[66:67], v[64:65], v[30:31]
	v_add_f64 v[18:19], v[18:19], v[38:39]
	v_fma_f64 v[38:39], v[70:71], v[48:49], v[70:71]
	v_fma_f64 v[16:17], -v[16:17], v[50:51], v[36:37]
	v_add_f64 v[36:37], v[68:69], -v[26:27]
	v_fma_f64 v[32:33], -v[32:33], v[66:67], v[64:65]
	v_add_f64 v[18:19], v[68:69], v[18:19]
	v_fma_f64 v[48:49], -v[52:53], v[38:39], 1.0
	v_div_fmas_f64 v[10:11], v[16:17], v[10:11], v[50:51]
	s_mov_b32 vcc_lo, s5
	v_add_f64 v[8:9], v[8:9], -v[36:37]
	v_div_fmas_f64 v[16:17], v[32:33], v[30:31], v[66:67]
	v_add_f64 v[30:31], v[68:69], -v[36:37]
	v_div_scale_f64 v[50:51], vcc_lo, -1.0, v[6:7], -1.0
	v_add_f64 v[32:33], v[54:55], v[18:19]
	v_fma_f64 v[38:39], v[38:39], v[48:49], v[38:39]
	v_div_fixup_f64 v[10:11], v[10:11], v[24:25], v[20:21]
	v_div_fixup_f64 v[16:17], v[16:17], v[22:23], v[28:29]
	v_add_f64 v[22:23], v[26:27], -v[30:31]
	v_fma_f64 v[30:31], v[6:7], v[6:7], s[6:7]
	s_mov_b32 s6, 0x6072a432
	s_mov_b32 s7, 0xc0489bf6
	v_add_f64 v[26:27], v[32:33], -v[54:55]
	v_mul_f64 v[28:29], v[50:51], v[38:39]
	v_mul_f64 v[16:17], v[6:7], v[16:17]
	v_add_f64 v[8:9], v[8:9], v[22:23]
	v_add_f64 v[18:19], v[18:19], -v[26:27]
	v_fma_f64 v[22:23], -v[52:53], v[28:29], v[50:51]
	v_fma_f64 v[26:27], v[6:7], v[6:7], s[6:7]
	s_mov_b32 s6, 0x6dc9c883
	s_mov_b32 s7, 0x3fe45f30
	v_mul_f64 v[16:17], v[30:31], v[16:17]
	v_add_f64 v[8:9], v[8:9], v[18:19]
	v_div_fmas_f64 v[18:19], v[22:23], v[38:39], v[28:29]
	v_mul_f64 v[16:17], v[26:27], v[16:17]
	v_add_f64 v[8:9], v[32:33], v[8:9]
	v_div_fixup_f64 v[18:19], v[18:19], v[6:7], -1.0
	v_fma_f64 v[8:9], v[16:17], v[8:9], v[18:19]
	v_mul_f64 v[8:9], v[8:9], s[6:7]
	v_fma_f64 v[10:11], v[6:7], v[10:11], v[8:9]
.LBB0_67:
	s_or_b32 exec_lo, exec_lo, s10
.LBB0_68:
	s_or_b32 exec_lo, exec_lo, s9
                                        ; implicit-def: $vgpr6_vgpr7
.LBB0_69:
	s_andn2_saveexec_b32 s42, s8
	s_cbranch_execz .LBB0_84
; %bb.70:
	s_mov_b32 s6, 0x7f3321d2
	s_mov_b32 s7, 0xc002d97c
                                        ; implicit-def: $vgpr30
                                        ; implicit-def: $vgpr10_vgpr11
                                        ; implicit-def: $vgpr16_vgpr17
	v_add_f64 v[8:9], v[6:7], s[6:7]
	v_cmp_ngt_f64_e64 s5, 0x41d00000, |v[8:9]|
	v_trig_preop_f64 v[26:27], |v[8:9]|, 0
	v_trig_preop_f64 v[24:25], |v[8:9]|, 1
	v_ldexp_f64 v[28:29], |v[8:9]|, 0xffffff80
	v_trig_preop_f64 v[22:23], |v[8:9]|, 2
	v_and_b32_e32 v32, 0x7fffffff, v9
	s_and_saveexec_b32 s6, s5
	s_xor_b32 s6, exec_lo, s6
	s_cbranch_execz .LBB0_77
; %bb.71:
	v_cmp_le_f64_e64 vcc_lo, 0x7b000000, |v[8:9]|
	v_mov_b32_e32 v54, 0
	s_mov_b32 s8, 0x54442d18
	s_mov_b32 s9, 0x3ff921fb
	;; [unrolled: 1-line block ×4, first 2 shown]
	v_cndmask_b32_e32 v11, v32, v29, vcc_lo
	v_cndmask_b32_e32 v10, v8, v28, vcc_lo
	v_mul_f64 v[16:17], v[26:27], v[10:11]
	v_mul_f64 v[18:19], v[24:25], v[10:11]
	;; [unrolled: 1-line block ×3, first 2 shown]
	v_fma_f64 v[20:21], v[26:27], v[10:11], -v[16:17]
	v_fma_f64 v[52:53], v[24:25], v[10:11], -v[18:19]
	v_fma_f64 v[10:11], v[22:23], v[10:11], -v[50:51]
	v_add_f64 v[30:31], v[18:19], v[20:21]
	v_add_f64 v[36:37], v[30:31], -v[18:19]
	v_add_f64 v[48:49], v[16:17], v[30:31]
	v_add_f64 v[38:39], v[30:31], -v[36:37]
	v_add_f64 v[20:21], v[20:21], -v[36:37]
	v_ldexp_f64 v[36:37], v[48:49], -2
	v_add_f64 v[16:17], v[48:49], -v[16:17]
	v_add_f64 v[18:19], v[18:19], -v[38:39]
	v_add_f64 v[38:39], v[50:51], v[52:53]
	v_cmp_neq_f64_e64 vcc_lo, 0x7ff00000, |v[36:37]|
	v_add_f64 v[16:17], v[30:31], -v[16:17]
	v_add_f64 v[18:19], v[20:21], v[18:19]
	v_fract_f64_e32 v[20:21], v[36:37]
	v_add_f64 v[30:31], v[38:39], v[18:19]
	v_ldexp_f64 v[20:21], v[20:21], 2
	v_add_f64 v[36:37], v[16:17], v[30:31]
	v_cndmask_b32_e32 v21, 0, v21, vcc_lo
	v_cndmask_b32_e32 v20, 0, v20, vcc_lo
	v_add_f64 v[64:65], v[30:31], -v[38:39]
	v_add_f64 v[48:49], v[36:37], v[20:21]
	v_add_f64 v[16:17], v[36:37], -v[16:17]
	v_add_f64 v[70:71], v[30:31], -v[64:65]
	;; [unrolled: 1-line block ×3, first 2 shown]
	v_cmp_gt_f64_e32 vcc_lo, 0, v[48:49]
	v_add_f64 v[48:49], v[38:39], -v[50:51]
	v_add_f64 v[16:17], v[30:31], -v[16:17]
	v_cndmask_b32_e64 v55, 0, 0x40100000, vcc_lo
	v_add_f64 v[68:69], v[38:39], -v[48:49]
	v_add_f64 v[48:49], v[52:53], -v[48:49]
	v_add_f64 v[38:39], v[38:39], -v[70:71]
	v_add_f64 v[20:21], v[20:21], v[54:55]
	v_add_f64 v[52:53], v[50:51], -v[68:69]
	v_add_f64 v[18:19], v[18:19], v[38:39]
	v_add_f64 v[66:67], v[36:37], v[20:21]
	;; [unrolled: 1-line block ×3, first 2 shown]
	v_cvt_i32_f64_e32 v33, v[66:67]
	v_add_f64 v[18:19], v[48:49], v[18:19]
	v_cvt_f64_i32_e32 v[64:65], v33
	v_add_f64 v[10:11], v[10:11], v[18:19]
	v_add_f64 v[20:21], v[20:21], -v[64:65]
	v_add_f64 v[10:11], v[16:17], v[10:11]
	v_add_f64 v[38:39], v[36:37], v[20:21]
	v_add_f64 v[18:19], v[38:39], -v[20:21]
	v_cmp_le_f64_e32 vcc_lo, 0.5, v[38:39]
	v_add_f64 v[16:17], v[36:37], -v[18:19]
	v_cndmask_b32_e64 v55, 0, 0x3ff00000, vcc_lo
	v_add_co_ci_u32_e64 v30, null, 0, v33, vcc_lo
	v_add_f64 v[10:11], v[10:11], v[16:17]
	v_add_f64 v[16:17], v[38:39], -v[54:55]
	v_add_f64 v[18:19], v[16:17], v[10:11]
	v_mul_f64 v[20:21], v[18:19], s[8:9]
	v_add_f64 v[16:17], v[18:19], -v[16:17]
	v_fma_f64 v[36:37], v[18:19], s[8:9], -v[20:21]
	v_add_f64 v[10:11], v[10:11], -v[16:17]
	v_fma_f64 v[16:17], v[18:19], s[10:11], v[36:37]
	v_fma_f64 v[16:17], v[10:11], s[8:9], v[16:17]
	v_add_f64 v[10:11], v[20:21], v[16:17]
	v_add_f64 v[18:19], v[10:11], -v[20:21]
	v_add_f64 v[16:17], v[16:17], -v[18:19]
	s_andn2_saveexec_b32 s6, s6
	s_cbranch_execz .LBB0_79
	s_branch .LBB0_78
.LBB0_72:
	s_or_b32 exec_lo, exec_lo, s41
	s_and_saveexec_b32 s5, s4
	s_xor_b32 s4, exec_lo, s5
	s_cbranch_execz .LBB0_85
.LBB0_73:
	v_mov_b32_e32 v6, 0
	v_mov_b32_e32 v34, v35
	v_lshlrev_b64 v[5:6], 3, v[5:6]
	v_add_co_u32 v5, vcc_lo, v0, v5
	v_add_co_ci_u32_e64 v6, null, v1, v6, vcc_lo
	flat_store_dwordx2 v[5:6], v[2:3]
	s_or_b32 exec_lo, exec_lo, s4
	s_mov_b32 s4, exec_lo
	v_cmpx_lt_i32_e64 v34, v4
	s_cbranch_execnz .LBB0_86
.LBB0_74:
	s_or_b32 exec_lo, exec_lo, s4
	s_mov_b32 s4, exec_lo
	v_cmpx_lt_i32_e64 v34, v4
	s_cbranch_execz .LBB0_87
.LBB0_75:
	v_add_nc_u32_e32 v2, s40, v34
	v_mov_b32_e32 v3, 0
	v_add_nc_u32_e32 v34, 0x100, v34
	v_lshlrev_b64 v[2:3], 3, v[2:3]
	v_add_co_u32 v2, vcc_lo, v0, v2
	v_add_co_ci_u32_e64 v3, null, v1, v3, vcc_lo
	flat_store_dwordx2 v[2:3], v[12:13]
	s_or_b32 exec_lo, exec_lo, s4
	s_mov_b32 s4, exec_lo
	v_cmpx_lt_i32_e64 v34, v4
	s_cbranch_execnz .LBB0_88
.LBB0_76:
	s_or_b32 exec_lo, exec_lo, s4
	s_waitcnt lgkmcnt(0)
	s_setpc_b64 s[30:31]
.LBB0_77:
	s_andn2_saveexec_b32 s6, s6
	s_cbranch_execz .LBB0_79
.LBB0_78:
	s_mov_b32 s8, 0x6dc9c883
	s_mov_b32 s9, 0x3fe45f30
	;; [unrolled: 1-line block ×3, first 2 shown]
	v_mul_f64 v[10:11], |v[8:9]|, s[8:9]
	s_mov_b32 s8, 0x54442d18
	s_mov_b32 s9, 0xbff921fb
	;; [unrolled: 1-line block ×3, first 2 shown]
	v_rndne_f64_e32 v[18:19], v[10:11]
	v_fma_f64 v[10:11], v[18:19], s[8:9], |v[8:9]|
	v_mul_f64 v[16:17], v[18:19], s[10:11]
	s_mov_b32 s8, 0x252049c0
	s_mov_b32 s9, 0xb97b839a
	v_fma_f64 v[30:31], v[18:19], s[10:11], v[10:11]
	v_add_f64 v[20:21], v[10:11], v[16:17]
	s_mov_b32 s11, 0x3c91a626
	v_add_f64 v[10:11], v[10:11], -v[20:21]
	v_add_f64 v[20:21], v[20:21], -v[30:31]
	v_add_f64 v[10:11], v[10:11], v[16:17]
	v_fma_f64 v[16:17], v[18:19], s[10:11], v[16:17]
	v_add_f64 v[10:11], v[20:21], v[10:11]
	v_add_f64 v[10:11], v[10:11], -v[16:17]
	v_fma_f64 v[16:17], v[18:19], s[8:9], v[10:11]
	v_add_f64 v[10:11], v[30:31], v[16:17]
	v_add_f64 v[20:21], v[10:11], -v[30:31]
	v_cvt_i32_f64_e32 v30, v[18:19]
	v_add_f64 v[16:17], v[16:17], -v[20:21]
.LBB0_79:
	s_or_b32 exec_lo, exec_lo, s6
                                        ; implicit-def: $vgpr31
                                        ; implicit-def: $vgpr18_vgpr19
                                        ; implicit-def: $vgpr20_vgpr21
	s_and_saveexec_b32 s6, s5
	s_xor_b32 s5, exec_lo, s6
	s_cbranch_execz .LBB0_81
; %bb.80:
	v_cmp_le_f64_e64 vcc_lo, 0x7b000000, |v[8:9]|
	v_mov_b32_e32 v52, 0
	s_mov_b32 s6, 0x54442d18
	s_mov_b32 s7, 0x3ff921fb
	;; [unrolled: 1-line block ×4, first 2 shown]
	v_cndmask_b32_e32 v19, v32, v29, vcc_lo
	v_cndmask_b32_e32 v18, v8, v28, vcc_lo
	v_mul_f64 v[20:21], v[26:27], v[18:19]
	v_mul_f64 v[28:29], v[24:25], v[18:19]
	;; [unrolled: 1-line block ×3, first 2 shown]
	v_fma_f64 v[26:27], v[26:27], v[18:19], -v[20:21]
	v_fma_f64 v[24:25], v[24:25], v[18:19], -v[28:29]
	;; [unrolled: 1-line block ×3, first 2 shown]
	v_add_f64 v[31:32], v[28:29], v[26:27]
	v_add_f64 v[36:37], v[31:32], -v[28:29]
	v_add_f64 v[48:49], v[20:21], v[31:32]
	v_add_f64 v[38:39], v[31:32], -v[36:37]
	v_add_f64 v[26:27], v[26:27], -v[36:37]
	v_ldexp_f64 v[36:37], v[48:49], -2
	v_add_f64 v[20:21], v[48:49], -v[20:21]
	v_add_f64 v[28:29], v[28:29], -v[38:39]
	v_add_f64 v[38:39], v[50:51], v[24:25]
	v_cmp_neq_f64_e64 vcc_lo, 0x7ff00000, |v[36:37]|
	v_add_f64 v[20:21], v[31:32], -v[20:21]
	v_add_f64 v[26:27], v[26:27], v[28:29]
	v_fract_f64_e32 v[28:29], v[36:37]
	v_add_f64 v[31:32], v[38:39], v[26:27]
	v_ldexp_f64 v[28:29], v[28:29], 2
	v_add_f64 v[36:37], v[20:21], v[31:32]
	v_cndmask_b32_e32 v29, 0, v29, vcc_lo
	v_cndmask_b32_e32 v28, 0, v28, vcc_lo
	v_add_f64 v[48:49], v[36:37], v[28:29]
	v_add_f64 v[20:21], v[36:37], -v[20:21]
	v_cmp_gt_f64_e32 vcc_lo, 0, v[48:49]
	v_add_f64 v[48:49], v[38:39], -v[50:51]
	v_add_f64 v[20:21], v[31:32], -v[20:21]
	v_cndmask_b32_e64 v53, 0, 0x40100000, vcc_lo
	v_add_f64 v[66:67], v[38:39], -v[48:49]
	v_add_f64 v[24:25], v[24:25], -v[48:49]
	v_add_f64 v[28:29], v[28:29], v[52:53]
	v_add_f64 v[53:54], v[31:32], -v[38:39]
	v_add_f64 v[48:49], v[50:51], -v[66:67]
	v_add_f64 v[64:65], v[36:37], v[28:29]
	;; [unrolled: 3-line block ×3, first 2 shown]
	v_cvt_i32_f64_e32 v33, v[64:65]
	v_add_f64 v[38:39], v[38:39], -v[68:69]
	v_cvt_f64_i32_e32 v[53:54], v33
	v_add_f64 v[26:27], v[26:27], v[38:39]
	v_add_f64 v[28:29], v[28:29], -v[53:54]
	v_add_f64 v[22:23], v[24:25], v[26:27]
	v_add_f64 v[24:25], v[36:37], v[28:29]
	v_add_f64 v[18:19], v[18:19], v[22:23]
	v_add_f64 v[22:23], v[24:25], -v[28:29]
	v_cmp_le_f64_e32 vcc_lo, 0.5, v[24:25]
	v_add_f64 v[18:19], v[20:21], v[18:19]
	v_add_f64 v[20:21], v[36:37], -v[22:23]
	v_cndmask_b32_e64 v53, 0, 0x3ff00000, vcc_lo
	v_add_co_ci_u32_e64 v31, null, 0, v33, vcc_lo
	v_add_f64 v[18:19], v[18:19], v[20:21]
	v_add_f64 v[20:21], v[24:25], -v[52:53]
	v_add_f64 v[22:23], v[20:21], v[18:19]
	v_mul_f64 v[24:25], v[22:23], s[6:7]
	v_add_f64 v[20:21], v[22:23], -v[20:21]
	v_fma_f64 v[26:27], v[22:23], s[6:7], -v[24:25]
	v_add_f64 v[18:19], v[18:19], -v[20:21]
	v_fma_f64 v[20:21], v[22:23], s[8:9], v[26:27]
	v_fma_f64 v[20:21], v[18:19], s[6:7], v[20:21]
	v_add_f64 v[18:19], v[24:25], v[20:21]
	v_add_f64 v[22:23], v[18:19], -v[24:25]
	v_add_f64 v[20:21], v[20:21], -v[22:23]
	s_andn2_saveexec_b32 s5, s5
	s_cbranch_execnz .LBB0_82
	s_branch .LBB0_83
.LBB0_81:
	s_andn2_saveexec_b32 s5, s5
	s_cbranch_execz .LBB0_83
.LBB0_82:
	s_mov_b32 s6, 0x6dc9c883
	s_mov_b32 s7, 0x3fe45f30
	;; [unrolled: 1-line block ×3, first 2 shown]
	v_mul_f64 v[18:19], |v[8:9]|, s[6:7]
	s_mov_b32 s6, 0x54442d18
	s_mov_b32 s7, 0xbff921fb
	;; [unrolled: 1-line block ×3, first 2 shown]
	v_rndne_f64_e32 v[22:23], v[18:19]
	v_fma_f64 v[18:19], v[22:23], s[6:7], |v[8:9]|
	v_mul_f64 v[20:21], v[22:23], s[8:9]
	s_mov_b32 s6, 0x252049c0
	s_mov_b32 s7, 0xb97b839a
	v_cvt_i32_f64_e32 v31, v[22:23]
	v_fma_f64 v[26:27], v[22:23], s[8:9], v[18:19]
	v_add_f64 v[24:25], v[18:19], v[20:21]
	s_mov_b32 s9, 0x3c91a626
	v_add_f64 v[18:19], v[18:19], -v[24:25]
	v_add_f64 v[24:25], v[24:25], -v[26:27]
	v_add_f64 v[18:19], v[18:19], v[20:21]
	v_fma_f64 v[20:21], v[22:23], s[8:9], v[20:21]
	v_add_f64 v[18:19], v[24:25], v[18:19]
	v_add_f64 v[18:19], v[18:19], -v[20:21]
	v_fma_f64 v[20:21], v[22:23], s[6:7], v[18:19]
	v_add_f64 v[18:19], v[26:27], v[20:21]
	v_add_f64 v[24:25], v[18:19], -v[26:27]
	v_add_f64 v[20:21], v[20:21], -v[24:25]
.LBB0_83:
	s_or_b32 exec_lo, exec_lo, s5
	v_div_scale_f64 v[22:23], null, v[6:7], v[6:7], 0x40140000
	s_mov_b32 s6, 0x4c6c651b
	s_mov_b32 s7, 0x3f48f92c
	;; [unrolled: 1-line block ×20, first 2 shown]
	v_rcp_f64_e32 v[24:25], v[22:23]
	s_mov_b32 s26, 0x11110bb3
	s_mov_b32 s27, 0x3f811111
	;; [unrolled: 1-line block ×4, first 2 shown]
	v_cmp_class_f64_e64 s5, v[8:9], 0x1f8
	v_fma_f64 v[26:27], -v[22:23], v[24:25], 1.0
	v_fma_f64 v[24:25], v[24:25], v[26:27], v[24:25]
	v_fma_f64 v[26:27], -v[22:23], v[24:25], 1.0
	v_fma_f64 v[24:25], v[24:25], v[26:27], v[24:25]
	v_div_scale_f64 v[26:27], vcc_lo, 0x40140000, v[6:7], 0x40140000
	v_mul_f64 v[28:29], v[26:27], v[24:25]
	v_fma_f64 v[22:23], -v[22:23], v[28:29], v[26:27]
	v_div_fmas_f64 v[22:23], v[22:23], v[24:25], v[28:29]
	v_div_fixup_f64 v[22:23], v[22:23], v[6:7], 0x40140000
	v_mul_f64 v[24:25], v[22:23], v[22:23]
	v_fma_f64 v[26:27], v[24:25], 0, s[6:7]
	s_mov_b32 s6, 0xa3fec4b6
	s_mov_b32 s7, 0x3fb2b948
	v_fma_f64 v[26:27], v[24:25], v[26:27], s[6:7]
	s_mov_b32 s6, 0xc21596d6
	s_mov_b32 s7, 0x3ff208fe
	;; [unrolled: 3-line block ×13, first 2 shown]
	v_fma_f64 v[28:29], v[24:25], v[28:29], 1.0
	v_fma_f64 v[32:33], v[24:25], v[32:33], s[6:7]
	s_mov_b32 s6, 0x9acf1c67
	s_mov_b32 s7, 0x4052f4b9
	v_fma_f64 v[32:33], v[24:25], v[32:33], s[6:7]
	s_mov_b32 s6, 0x47aa180d
	s_mov_b32 s7, 0x4076ec79
	;; [unrolled: 3-line block ×13, first 2 shown]
	v_fma_f64 v[36:37], v[24:25], v[36:37], s[6:7]
	v_fma_f64 v[24:25], v[24:25], v[26:27], 1.0
	s_mov_b32 s6, 0x9037ab78
	s_mov_b32 s7, 0x3e21eeb6
	v_div_scale_f64 v[26:27], null, v[28:29], v[28:29], v[24:25]
	v_rcp_f64_e32 v[38:39], v[26:27]
	v_fma_f64 v[48:49], -v[26:27], v[38:39], 1.0
	v_fma_f64 v[38:39], v[38:39], v[48:49], v[38:39]
	v_fma_f64 v[48:49], -v[26:27], v[38:39], 1.0
	v_fma_f64 v[38:39], v[38:39], v[48:49], v[38:39]
	v_div_scale_f64 v[48:49], vcc_lo, v[24:25], v[28:29], v[24:25]
	v_mul_f64 v[50:51], v[48:49], v[38:39]
	v_fma_f64 v[26:27], -v[26:27], v[50:51], v[48:49]
	v_div_fmas_f64 v[26:27], v[26:27], v[38:39], v[50:51]
	v_div_fixup_f64 v[24:25], v[26:27], v[28:29], v[24:25]
	v_mul_f64 v[26:27], v[10:11], v[10:11]
	v_mul_f64 v[28:29], v[26:27], 0.5
	v_fma_f64 v[50:51], v[26:27], s[8:9], s[6:7]
	v_add_f64 v[38:39], -v[28:29], 1.0
	v_fma_f64 v[50:51], v[26:27], v[50:51], s[10:11]
	v_add_f64 v[48:49], -v[38:39], 1.0
	v_fma_f64 v[50:51], v[26:27], v[50:51], s[16:17]
	v_add_f64 v[28:29], v[48:49], -v[28:29]
	v_fma_f64 v[50:51], v[26:27], v[50:51], s[18:19]
	v_mul_f64 v[48:49], v[26:27], v[26:27]
	v_fma_f64 v[28:29], v[10:11], -v[16:17], v[28:29]
	v_fma_f64 v[50:51], v[26:27], v[50:51], s[20:21]
	v_fma_f64 v[28:29], v[48:49], v[50:51], v[28:29]
	v_mul_f64 v[48:49], v[10:11], -v[26:27]
	v_mul_f64 v[50:51], v[16:17], 0.5
	v_add_f64 v[28:29], v[38:39], v[28:29]
	v_fma_f64 v[38:39], v[26:27], s[14:15], s[12:13]
	v_fma_f64 v[38:39], v[26:27], v[38:39], s[22:23]
	;; [unrolled: 1-line block ×5, first 2 shown]
	v_fma_f64 v[16:17], v[26:27], v[38:39], -v[16:17]
	v_fma_f64 v[16:17], v[48:49], s[28:29], v[16:17]
	v_add_f64 v[10:11], v[10:11], -v[16:17]
	v_and_b32_e32 v16, 1, v30
	v_cmp_eq_u32_e32 vcc_lo, 0, v16
	v_lshlrev_b32_e32 v16, 30, v30
	v_xor_b32_e32 v16, v16, v9
	v_and_b32_e32 v16, 0x80000000, v16
	v_cndmask_b32_e32 v11, v29, v11, vcc_lo
	v_cndmask_b32_e32 v10, v28, v10, vcc_lo
	v_xor_b32_e32 v11, v11, v16
	v_cndmask_b32_e64 v8, 0, v10, s5
	v_cndmask_b32_e64 v9, 0x7ff80000, v11, s5
	v_div_scale_f64 v[10:11], null, v[36:37], v[36:37], v[32:33]
	v_rcp_f64_e32 v[16:17], v[10:11]
	v_fma_f64 v[26:27], -v[10:11], v[16:17], 1.0
	v_fma_f64 v[16:17], v[16:17], v[26:27], v[16:17]
	v_fma_f64 v[26:27], -v[10:11], v[16:17], 1.0
	v_fma_f64 v[16:17], v[16:17], v[26:27], v[16:17]
	v_div_scale_f64 v[26:27], vcc_lo, v[32:33], v[36:37], v[32:33]
	v_mul_f64 v[28:29], v[26:27], v[16:17]
	v_fma_f64 v[10:11], -v[10:11], v[28:29], v[26:27]
	v_div_fmas_f64 v[10:11], v[10:11], v[16:17], v[28:29]
	v_mul_f64 v[16:17], v[18:19], v[18:19]
	v_div_fixup_f64 v[10:11], v[10:11], v[36:37], v[32:33]
	v_fma_f64 v[32:33], v[16:17], s[8:9], s[6:7]
	s_mov_b32 s6, 0x33d43651
	s_mov_b32 s7, 0x3fe98845
	v_mul_f64 v[10:11], v[22:23], v[10:11]
	v_mul_f64 v[22:23], v[16:17], 0.5
	v_fma_f64 v[32:33], v[16:17], v[32:33], s[10:11]
	v_add_f64 v[26:27], -v[22:23], 1.0
	v_fma_f64 v[32:33], v[16:17], v[32:33], s[16:17]
	v_add_f64 v[28:29], -v[26:27], 1.0
	v_fma_f64 v[32:33], v[16:17], v[32:33], s[18:19]
	v_add_f64 v[22:23], v[28:29], -v[22:23]
	v_mul_f64 v[28:29], v[16:17], v[16:17]
	v_fma_f64 v[32:33], v[16:17], v[32:33], s[20:21]
	v_fma_f64 v[22:23], v[18:19], -v[20:21], v[22:23]
	v_fma_f64 v[22:23], v[28:29], v[32:33], v[22:23]
	v_mul_f64 v[28:29], v[18:19], -v[16:17]
	v_mul_f64 v[32:33], v[20:21], 0.5
	v_add_f64 v[22:23], v[26:27], v[22:23]
	v_fma_f64 v[26:27], v[16:17], s[14:15], s[12:13]
	v_fma_f64 v[26:27], v[16:17], v[26:27], s[22:23]
	;; [unrolled: 1-line block ×5, first 2 shown]
	v_fma_f64 v[16:17], v[16:17], v[26:27], -v[20:21]
	v_fma_f64 v[16:17], v[28:29], s[28:29], v[16:17]
	v_add_f64 v[16:17], v[18:19], -v[16:17]
	v_and_b32_e32 v18, 1, v31
	v_cmp_eq_u32_e32 vcc_lo, 0, v18
	v_lshlrev_b32_e32 v18, 30, v31
	v_and_b32_e32 v18, 0x80000000, v18
	v_xor_b32_e32 v17, 0x80000000, v17
	v_cndmask_b32_e32 v16, v16, v22, vcc_lo
	v_cndmask_b32_e32 v17, v17, v23, vcc_lo
	v_cndmask_b32_e64 v16, 0, v16, s5
	v_cmp_gt_f64_e32 vcc_lo, 0x10000000, v[6:7]
	v_xor_b32_e32 v17, v17, v18
	v_cndmask_b32_e64 v17, 0x7ff80000, v17, s5
	v_mul_f64 v[10:11], v[10:11], v[16:17]
	v_fma_f64 v[8:9], v[24:25], v[8:9], v[10:11]
	v_cndmask_b32_e64 v10, 0, 0x100, vcc_lo
	v_ldexp_f64 v[6:7], v[6:7], v10
	v_mul_f64 v[8:9], v[8:9], s[6:7]
	v_rsq_f64_e32 v[10:11], v[6:7]
	v_mul_f64 v[16:17], v[6:7], v[10:11]
	v_mul_f64 v[10:11], v[10:11], 0.5
	v_fma_f64 v[18:19], -v[10:11], v[16:17], 0.5
	v_fma_f64 v[16:17], v[16:17], v[18:19], v[16:17]
	v_fma_f64 v[10:11], v[10:11], v[18:19], v[10:11]
	v_fma_f64 v[20:21], -v[16:17], v[16:17], v[6:7]
	v_fma_f64 v[16:17], v[20:21], v[10:11], v[16:17]
	v_fma_f64 v[18:19], -v[16:17], v[16:17], v[6:7]
	v_fma_f64 v[10:11], v[18:19], v[10:11], v[16:17]
	v_cndmask_b32_e64 v16, 0, 0xffffff80, vcc_lo
	v_cmp_class_f64_e64 vcc_lo, v[6:7], 0x260
	v_ldexp_f64 v[10:11], v[10:11], v16
	v_cndmask_b32_e32 v7, v11, v7, vcc_lo
	v_cndmask_b32_e32 v6, v10, v6, vcc_lo
	v_div_scale_f64 v[10:11], null, v[6:7], v[6:7], v[8:9]
	v_rcp_f64_e32 v[16:17], v[10:11]
	v_fma_f64 v[18:19], -v[10:11], v[16:17], 1.0
	v_fma_f64 v[16:17], v[16:17], v[18:19], v[16:17]
	v_fma_f64 v[18:19], -v[10:11], v[16:17], 1.0
	v_fma_f64 v[16:17], v[16:17], v[18:19], v[16:17]
	v_div_scale_f64 v[18:19], vcc_lo, v[8:9], v[6:7], v[8:9]
	v_mul_f64 v[20:21], v[18:19], v[16:17]
	v_fma_f64 v[10:11], -v[10:11], v[20:21], v[18:19]
	v_div_fmas_f64 v[10:11], v[10:11], v[16:17], v[20:21]
	v_div_fixup_f64 v[10:11], v[10:11], v[6:7], v[8:9]
.LBB0_84:
	s_or_b32 exec_lo, exec_lo, s42
	s_or_b32 exec_lo, exec_lo, s41
	s_and_saveexec_b32 s5, s4
	s_xor_b32 s4, exec_lo, s5
	s_cbranch_execnz .LBB0_73
.LBB0_85:
	s_or_b32 exec_lo, exec_lo, s4
	s_mov_b32 s4, exec_lo
	v_cmpx_lt_i32_e64 v34, v4
	s_cbranch_execz .LBB0_74
.LBB0_86:
	v_add_nc_u32_e32 v2, s40, v34
	v_mov_b32_e32 v3, 0
	v_add_nc_u32_e32 v34, 0x100, v34
	v_lshlrev_b64 v[2:3], 3, v[2:3]
	v_add_co_u32 v2, vcc_lo, v0, v2
	v_add_co_ci_u32_e64 v3, null, v1, v3, vcc_lo
	flat_store_dwordx2 v[2:3], v[14:15]
	s_or_b32 exec_lo, exec_lo, s4
	s_mov_b32 s4, exec_lo
	v_cmpx_lt_i32_e64 v34, v4
	s_cbranch_execnz .LBB0_75
.LBB0_87:
	s_or_b32 exec_lo, exec_lo, s4
	s_mov_b32 s4, exec_lo
	v_cmpx_lt_i32_e64 v34, v4
	s_cbranch_execz .LBB0_76
.LBB0_88:
	v_add_nc_u32_e32 v2, s40, v34
	v_mov_b32_e32 v3, 0
	v_lshlrev_b64 v[2:3], 3, v[2:3]
	v_add_co_u32 v0, vcc_lo, v0, v2
	v_add_co_ci_u32_e64 v1, null, v1, v3, vcc_lo
	flat_store_dwordx2 v[0:1], v[10:11]
	s_or_b32 exec_lo, exec_lo, s4
	s_waitcnt lgkmcnt(0)
	s_setpc_b64 s[30:31]
.Lfunc_end0:
	.size	_ZN2at6native25elementwise_kernel_helperILb0EZZZNS0_12_GLOBAL__N_121bessel_y1_kernel_cudaERNS_18TensorIteratorBaseEENKUlvE_clEvENKUlvE_clEvEUldE_NS0_6memory8policies11unroll_baseILi256ESt5arrayIPcLm2EE23TrivialOffsetCalculatorILi1EjESF_NS8_15LoadWithoutCastENS8_16StoreWithoutCastELi4ELi1EEEEEvT0_T1_, .Lfunc_end0-_ZN2at6native25elementwise_kernel_helperILb0EZZZNS0_12_GLOBAL__N_121bessel_y1_kernel_cudaERNS_18TensorIteratorBaseEENKUlvE_clEvENKUlvE_clEvEUldE_NS0_6memory8policies11unroll_baseILi256ESt5arrayIPcLm2EE23TrivialOffsetCalculatorILi1EjESF_NS8_15LoadWithoutCastENS8_16StoreWithoutCastELi4ELi1EEEEEvT0_T1_
                                        ; -- End function
	.set .L_ZN2at6native25elementwise_kernel_helperILb0EZZZNS0_12_GLOBAL__N_121bessel_y1_kernel_cudaERNS_18TensorIteratorBaseEENKUlvE_clEvENKUlvE_clEvEUldE_NS0_6memory8policies11unroll_baseILi256ESt5arrayIPcLm2EE23TrivialOffsetCalculatorILi1EjESF_NS8_15LoadWithoutCastENS8_16StoreWithoutCastELi4ELi1EEEEEvT0_T1_.num_vgpr, 84
	.set .L_ZN2at6native25elementwise_kernel_helperILb0EZZZNS0_12_GLOBAL__N_121bessel_y1_kernel_cudaERNS_18TensorIteratorBaseEENKUlvE_clEvENKUlvE_clEvEUldE_NS0_6memory8policies11unroll_baseILi256ESt5arrayIPcLm2EE23TrivialOffsetCalculatorILi1EjESF_NS8_15LoadWithoutCastENS8_16StoreWithoutCastELi4ELi1EEEEEvT0_T1_.num_agpr, 0
	.set .L_ZN2at6native25elementwise_kernel_helperILb0EZZZNS0_12_GLOBAL__N_121bessel_y1_kernel_cudaERNS_18TensorIteratorBaseEENKUlvE_clEvENKUlvE_clEvEUldE_NS0_6memory8policies11unroll_baseILi256ESt5arrayIPcLm2EE23TrivialOffsetCalculatorILi1EjESF_NS8_15LoadWithoutCastENS8_16StoreWithoutCastELi4ELi1EEEEEvT0_T1_.numbered_sgpr, 43
	.set .L_ZN2at6native25elementwise_kernel_helperILb0EZZZNS0_12_GLOBAL__N_121bessel_y1_kernel_cudaERNS_18TensorIteratorBaseEENKUlvE_clEvENKUlvE_clEvEUldE_NS0_6memory8policies11unroll_baseILi256ESt5arrayIPcLm2EE23TrivialOffsetCalculatorILi1EjESF_NS8_15LoadWithoutCastENS8_16StoreWithoutCastELi4ELi1EEEEEvT0_T1_.num_named_barrier, 0
	.set .L_ZN2at6native25elementwise_kernel_helperILb0EZZZNS0_12_GLOBAL__N_121bessel_y1_kernel_cudaERNS_18TensorIteratorBaseEENKUlvE_clEvENKUlvE_clEvEUldE_NS0_6memory8policies11unroll_baseILi256ESt5arrayIPcLm2EE23TrivialOffsetCalculatorILi1EjESF_NS8_15LoadWithoutCastENS8_16StoreWithoutCastELi4ELi1EEEEEvT0_T1_.private_seg_size, 0
	.set .L_ZN2at6native25elementwise_kernel_helperILb0EZZZNS0_12_GLOBAL__N_121bessel_y1_kernel_cudaERNS_18TensorIteratorBaseEENKUlvE_clEvENKUlvE_clEvEUldE_NS0_6memory8policies11unroll_baseILi256ESt5arrayIPcLm2EE23TrivialOffsetCalculatorILi1EjESF_NS8_15LoadWithoutCastENS8_16StoreWithoutCastELi4ELi1EEEEEvT0_T1_.uses_vcc, 1
	.set .L_ZN2at6native25elementwise_kernel_helperILb0EZZZNS0_12_GLOBAL__N_121bessel_y1_kernel_cudaERNS_18TensorIteratorBaseEENKUlvE_clEvENKUlvE_clEvEUldE_NS0_6memory8policies11unroll_baseILi256ESt5arrayIPcLm2EE23TrivialOffsetCalculatorILi1EjESF_NS8_15LoadWithoutCastENS8_16StoreWithoutCastELi4ELi1EEEEEvT0_T1_.uses_flat_scratch, 0
	.set .L_ZN2at6native25elementwise_kernel_helperILb0EZZZNS0_12_GLOBAL__N_121bessel_y1_kernel_cudaERNS_18TensorIteratorBaseEENKUlvE_clEvENKUlvE_clEvEUldE_NS0_6memory8policies11unroll_baseILi256ESt5arrayIPcLm2EE23TrivialOffsetCalculatorILi1EjESF_NS8_15LoadWithoutCastENS8_16StoreWithoutCastELi4ELi1EEEEEvT0_T1_.has_dyn_sized_stack, 0
	.set .L_ZN2at6native25elementwise_kernel_helperILb0EZZZNS0_12_GLOBAL__N_121bessel_y1_kernel_cudaERNS_18TensorIteratorBaseEENKUlvE_clEvENKUlvE_clEvEUldE_NS0_6memory8policies11unroll_baseILi256ESt5arrayIPcLm2EE23TrivialOffsetCalculatorILi1EjESF_NS8_15LoadWithoutCastENS8_16StoreWithoutCastELi4ELi1EEEEEvT0_T1_.has_recursion, 0
	.set .L_ZN2at6native25elementwise_kernel_helperILb0EZZZNS0_12_GLOBAL__N_121bessel_y1_kernel_cudaERNS_18TensorIteratorBaseEENKUlvE_clEvENKUlvE_clEvEUldE_NS0_6memory8policies11unroll_baseILi256ESt5arrayIPcLm2EE23TrivialOffsetCalculatorILi1EjESF_NS8_15LoadWithoutCastENS8_16StoreWithoutCastELi4ELi1EEEEEvT0_T1_.has_indirect_call, 0
	.section	.AMDGPU.csdata,"",@progbits
; Function info:
; codeLenInByte = 22412
; TotalNumSgprs: 45
; NumVgprs: 84
; ScratchSize: 0
; MemoryBound: 0
	.text
	.p2align	2                               ; -- Begin function _ZN2at6native25elementwise_kernel_helperILb0EZZZNS0_12_GLOBAL__N_121bessel_y1_kernel_cudaERNS_18TensorIteratorBaseEENKUlvE_clEvENKUlvE_clEvEUldE_NS0_6memory8policies10vectorizedILi4ESt5arrayIPcLm2EELi4EEEEEvT0_T1_
	.type	_ZN2at6native25elementwise_kernel_helperILb0EZZZNS0_12_GLOBAL__N_121bessel_y1_kernel_cudaERNS_18TensorIteratorBaseEENKUlvE_clEvENKUlvE_clEvEUldE_NS0_6memory8policies10vectorizedILi4ESt5arrayIPcLm2EELi4EEEEEvT0_T1_,@function
_ZN2at6native25elementwise_kernel_helperILb0EZZZNS0_12_GLOBAL__N_121bessel_y1_kernel_cudaERNS_18TensorIteratorBaseEENKUlvE_clEvENKUlvE_clEvEUldE_NS0_6memory8policies10vectorizedILi4ESt5arrayIPcLm2EELi4EEEEEvT0_T1_: ; @_ZN2at6native25elementwise_kernel_helperILb0EZZZNS0_12_GLOBAL__N_121bessel_y1_kernel_cudaERNS_18TensorIteratorBaseEENKUlvE_clEvENKUlvE_clEvEUldE_NS0_6memory8policies10vectorizedILi4ESt5arrayIPcLm2EELi4EEEEEvT0_T1_
; %bb.0:
	s_waitcnt vmcnt(0) expcnt(0) lgkmcnt(0)
	s_lshl_b32 s4, s12, 10
	v_and_b32_e32 v4, 0x3ff, v31
	s_ashr_i32 s5, s4, 31
                                        ; implicit-def: $vgpr6_vgpr7
	s_lshl_b64 s[6:7], s[4:5], 3
	s_mov_b32 s4, exec_lo
	v_lshlrev_b32_e32 v28, 5, v4
	v_add_co_u32 v2, vcc_lo, v2, s6
	v_add_co_ci_u32_e64 v3, null, s7, v3, vcc_lo
	v_add_co_u32 v2, vcc_lo, v2, v28
	v_add_co_ci_u32_e64 v3, null, 0, v3, vcc_lo
	s_clause 0x1
	flat_load_dwordx4 v[8:11], v[2:3]
	flat_load_dwordx4 v[2:5], v[2:3] offset:16
	s_waitcnt vmcnt(1) lgkmcnt(1)
	v_cmpx_ge_f64_e32 0x40140000, v[8:9]
	s_xor_b32 s8, exec_lo, s4
	s_cbranch_execz .LBB1_6
; %bb.1:
	v_mov_b32_e32 v6, 0
	v_mov_b32_e32 v7, 0xfff00000
	s_mov_b32 s9, exec_lo
	v_cmpx_neq_f64_e32 0, v[8:9]
	s_cbranch_execz .LBB1_5
; %bb.2:
	v_mov_b32_e32 v6, 0
	v_mov_b32_e32 v7, 0x7ff80000
	s_mov_b32 s10, exec_lo
	v_cmpx_nge_f64_e32 0, v[8:9]
	s_cbranch_execz .LBB1_4
; %bb.3:
	v_frexp_mant_f64_e32 v[6:7], v[8:9]
	s_mov_b32 s5, 0x3fe55555
	s_mov_b32 s4, 0x55555555
	;; [unrolled: 1-line block ×8, first 2 shown]
	v_frexp_exp_i32_f64_e32 v33, v[8:9]
	s_mov_b32 s18, 0xfefa39ef
	s_mov_b32 s19, 0x3fe62e42
	v_cmp_gt_f64_e32 vcc_lo, s[4:5], v[6:7]
	s_mov_b32 s4, 0x55555780
	v_cndmask_b32_e64 v12, 0, 1, vcc_lo
	v_ldexp_f64 v[6:7], v[6:7], v12
	v_add_f64 v[12:13], v[6:7], 1.0
	v_add_f64 v[18:19], v[6:7], -1.0
	v_rcp_f64_e32 v[14:15], v[12:13]
	v_add_f64 v[20:21], v[12:13], -1.0
	v_add_f64 v[6:7], v[6:7], -v[20:21]
	v_fma_f64 v[16:17], -v[12:13], v[14:15], 1.0
	v_fma_f64 v[14:15], v[16:17], v[14:15], v[14:15]
	v_fma_f64 v[16:17], -v[12:13], v[14:15], 1.0
	v_fma_f64 v[14:15], v[16:17], v[14:15], v[14:15]
	v_mul_f64 v[16:17], v[18:19], v[14:15]
	v_mul_f64 v[22:23], v[12:13], v[16:17]
	v_fma_f64 v[12:13], v[16:17], v[12:13], -v[22:23]
	v_fma_f64 v[6:7], v[16:17], v[6:7], v[12:13]
	v_add_f64 v[12:13], v[22:23], v[6:7]
	v_add_f64 v[20:21], v[18:19], -v[12:13]
	v_add_f64 v[22:23], v[12:13], -v[22:23]
	;; [unrolled: 1-line block ×5, first 2 shown]
	v_add_f64 v[6:7], v[6:7], v[12:13]
	v_add_f64 v[6:7], v[20:21], v[6:7]
	v_mul_f64 v[20:21], v[8:9], v[8:9]
	v_mul_f64 v[6:7], v[14:15], v[6:7]
	v_add_f64 v[12:13], v[16:17], v[6:7]
	v_mul_f64 v[14:15], v[12:13], v[12:13]
	v_ldexp_f64 v[31:32], v[12:13], 1
	v_fma_f64 v[18:19], v[14:15], s[14:15], s[12:13]
	s_mov_b32 s12, 0xd7f4df2e
	s_mov_b32 s13, 0x3fc7474d
	;; [unrolled: 1-line block ×4, first 2 shown]
	v_mul_f64 v[29:30], v[12:13], v[14:15]
	v_fma_f64 v[24:25], v[20:21], 0, s[14:15]
	s_mov_b32 s14, 0xdd701b2
	s_mov_b32 s15, 0x410f5eda
	v_add_f64 v[12:13], v[12:13], -v[16:17]
	v_fma_f64 v[18:19], v[14:15], v[18:19], s[12:13]
	s_mov_b32 s12, 0xa93f7ac2
	s_mov_b32 s13, 0x40829269
	v_fma_f64 v[22:23], v[20:21], 0, s[12:13]
	s_mov_b32 s12, 0x16291751
	s_mov_b32 s13, 0x3fcc71c0
	;; [unrolled: 3-line block ×3, first 2 shown]
	v_add_f64 v[6:7], v[6:7], -v[12:13]
	v_fma_f64 v[18:19], v[14:15], v[18:19], s[12:13]
	s_mov_b32 s12, 0xbe58ef7f
	s_mov_b32 s13, 0x410cc160
	v_fma_f64 v[22:23], v[20:21], v[22:23], s[12:13]
	s_mov_b32 s12, 0x9b27acf1
	s_mov_b32 s13, 0x3fd24924
	;; [unrolled: 3-line block ×3, first 2 shown]
	v_ldexp_f64 v[6:7], v[6:7], 1
	v_fma_f64 v[18:19], v[14:15], v[18:19], s[12:13]
	s_mov_b32 s12, 0x62f9b6c5
	s_mov_b32 s13, 0x41d2d2be
	v_fma_f64 v[26:27], v[20:21], 0, s[12:13]
	v_fma_f64 v[22:23], v[20:21], v[22:23], s[14:15]
	s_mov_b32 s12, 0x998ef7b6
	s_mov_b32 s13, 0x3fd99999
	;; [unrolled: 1-line block ×4, first 2 shown]
	v_fma_f64 v[24:25], v[20:21], v[24:25], s[16:17]
	s_mov_b32 s16, 0x8076ffa8
	s_mov_b32 s17, 0x429146fb
	v_fma_f64 v[18:19], v[14:15], v[18:19], s[12:13]
	s_mov_b32 s12, 0x58836521
	s_mov_b32 s13, 0xc262d72d
	v_fma_f64 v[26:27], v[20:21], v[26:27], s[12:13]
	v_fma_f64 v[22:23], v[20:21], v[22:23], s[14:15]
	s_mov_b32 s12, 0xfda99316
	s_mov_b32 s14, 0x4cda4fc5
	;; [unrolled: 1-line block ×4, first 2 shown]
	v_fma_f64 v[24:25], v[20:21], v[24:25], s[16:17]
	s_mov_b32 s16, 0x3eccf45f
	s_mov_b32 s17, 0x43064b0a
	v_fma_f64 v[14:15], v[14:15], v[18:19], s[4:5]
	s_mov_b32 s4, 0xb0910fef
	s_mov_b32 s5, 0x42da0954
	v_fma_f64 v[18:19], v[20:21], v[26:27], s[4:5]
	v_fma_f64 v[22:23], v[20:21], v[22:23], s[12:13]
	;; [unrolled: 1-line block ×3, first 2 shown]
	s_mov_b32 s4, 0x37a1b083
	s_mov_b32 s12, 0xd71d1e4e
	;; [unrolled: 1-line block ×6, first 2 shown]
	v_fma_f64 v[24:25], v[20:21], v[24:25], s[16:17]
	s_mov_b32 s16, 0xf4653f81
	s_mov_b32 s17, 0x4373e0bf
	v_mul_f64 v[14:15], v[29:30], v[14:15]
	v_subrev_co_ci_u32_e64 v29, null, 0, v33, vcc_lo
	v_fma_f64 v[18:19], v[20:21], v[18:19], s[4:5]
	v_fma_f64 v[22:23], v[20:21], v[22:23], s[12:13]
	;; [unrolled: 1-line block ×3, first 2 shown]
	v_cvt_f64_i32_e32 v[29:30], v29
	s_mov_b32 s4, 0xb7366b1
	s_mov_b32 s12, 0xc547a488
	s_mov_b32 s14, 0xe6ccf175
	s_mov_b32 s5, 0x438679ad
	s_mov_b32 s13, 0x436e83e3
	s_mov_b32 s15, 0xc2d08a92
	v_fma_f64 v[24:25], v[20:21], v[24:25], s[16:17]
	s_mov_b32 s16, 0xa697c482
	s_mov_b32 s17, 0x432a2b42
	v_add_f64 v[16:17], v[31:32], v[14:15]
	v_fma_f64 v[18:19], v[20:21], v[18:19], s[4:5]
	v_fma_f64 v[22:23], v[20:21], v[22:23], s[12:13]
	;; [unrolled: 1-line block ×3, first 2 shown]
	v_mul_f64 v[33:34], v[29:30], s[18:19]
	s_mov_b32 s4, 0x90f6747f
	s_mov_b32 s12, 0x5dde2b17
	;; [unrolled: 1-line block ×6, first 2 shown]
	v_add_f64 v[12:13], v[16:17], -v[31:32]
	v_fma_f64 v[18:19], v[20:21], v[18:19], s[12:13]
	v_fma_f64 v[22:23], v[20:21], v[22:23], s[4:5]
	v_fma_f64 v[26:27], v[20:21], v[26:27], s[16:17]
	v_fma_f64 v[20:21], v[20:21], v[24:25], s[14:15]
	v_fma_f64 v[24:25], v[29:30], s[18:19], -v[33:34]
	s_mov_b32 s4, 0x3b39803f
	s_mov_b32 s5, 0x3c7abc9e
	v_add_f64 v[12:13], v[14:15], -v[12:13]
	v_div_scale_f64 v[14:15], null, v[22:23], v[22:23], v[18:19]
	v_div_scale_f64 v[31:32], null, v[20:21], v[20:21], v[26:27]
	v_fma_f64 v[24:25], v[29:30], s[4:5], v[24:25]
	v_add_f64 v[6:7], v[6:7], v[12:13]
	v_rcp_f64_e32 v[12:13], v[14:15]
	v_rcp_f64_e32 v[29:30], v[31:32]
	v_add_f64 v[35:36], v[33:34], v[24:25]
	v_add_f64 v[37:38], v[16:17], v[6:7]
	v_fma_f64 v[48:49], -v[14:15], v[12:13], 1.0
	v_fma_f64 v[50:51], -v[31:32], v[29:30], 1.0
	v_add_f64 v[33:34], v[35:36], -v[33:34]
	v_add_f64 v[52:53], v[35:36], v[37:38]
	v_add_f64 v[16:17], v[37:38], -v[16:17]
	v_fma_f64 v[12:13], v[12:13], v[48:49], v[12:13]
	v_fma_f64 v[29:30], v[29:30], v[50:51], v[29:30]
	v_div_scale_f64 v[50:51], null, v[8:9], v[8:9], -1.0
	v_add_f64 v[24:25], v[24:25], -v[33:34]
	v_div_scale_f64 v[33:34], vcc_lo, v[18:19], v[22:23], v[18:19]
	v_add_f64 v[48:49], v[52:53], -v[35:36]
	v_add_f64 v[6:7], v[6:7], -v[16:17]
	v_fma_f64 v[54:55], -v[14:15], v[12:13], 1.0
	v_fma_f64 v[64:65], -v[31:32], v[29:30], 1.0
	v_rcp_f64_e32 v[68:69], v[50:51]
	v_add_f64 v[66:67], v[52:53], -v[48:49]
	v_add_f64 v[16:17], v[37:38], -v[48:49]
	v_fma_f64 v[12:13], v[12:13], v[54:55], v[12:13]
	v_div_scale_f64 v[54:55], s4, v[26:27], v[20:21], v[26:27]
	v_fma_f64 v[29:30], v[29:30], v[64:65], v[29:30]
	v_fma_f64 v[37:38], -v[50:51], v[68:69], 1.0
	v_add_f64 v[35:36], v[35:36], -v[66:67]
	v_add_f64 v[66:67], v[24:25], v[6:7]
	v_mul_f64 v[48:49], v[33:34], v[12:13]
	v_mul_f64 v[64:65], v[54:55], v[29:30]
	v_add_f64 v[16:17], v[16:17], v[35:36]
	v_fma_f64 v[35:36], v[68:69], v[37:38], v[68:69]
	v_fma_f64 v[14:15], -v[14:15], v[48:49], v[33:34]
	v_add_f64 v[33:34], v[66:67], -v[24:25]
	v_fma_f64 v[31:32], -v[31:32], v[64:65], v[54:55]
	v_add_f64 v[16:17], v[66:67], v[16:17]
	v_fma_f64 v[37:38], -v[50:51], v[35:36], 1.0
	v_div_fmas_f64 v[12:13], v[14:15], v[12:13], v[48:49]
	s_mov_b32 vcc_lo, s4
	v_add_f64 v[6:7], v[6:7], -v[33:34]
	v_div_fmas_f64 v[14:15], v[31:32], v[29:30], v[64:65]
	v_add_f64 v[29:30], v[66:67], -v[33:34]
	v_div_scale_f64 v[48:49], vcc_lo, -1.0, v[8:9], -1.0
	s_mov_b32 s4, 0x4189822c
	s_mov_b32 s5, 0xc02d5d2b
	v_add_f64 v[31:32], v[52:53], v[16:17]
	v_fma_f64 v[35:36], v[35:36], v[37:38], v[35:36]
	v_div_fixup_f64 v[12:13], v[12:13], v[22:23], v[18:19]
	v_div_fixup_f64 v[14:15], v[14:15], v[20:21], v[26:27]
	v_add_f64 v[20:21], v[24:25], -v[29:30]
	v_fma_f64 v[29:30], v[8:9], v[8:9], s[4:5]
	s_mov_b32 s4, 0x6072a432
	s_mov_b32 s5, 0xc0489bf6
	v_add_f64 v[24:25], v[31:32], -v[52:53]
	v_mul_f64 v[26:27], v[48:49], v[35:36]
	v_mul_f64 v[14:15], v[8:9], v[14:15]
	v_add_f64 v[6:7], v[6:7], v[20:21]
	v_add_f64 v[16:17], v[16:17], -v[24:25]
	v_fma_f64 v[20:21], -v[50:51], v[26:27], v[48:49]
	v_fma_f64 v[24:25], v[8:9], v[8:9], s[4:5]
	s_mov_b32 s4, 0x6dc9c883
	s_mov_b32 s5, 0x3fe45f30
	v_mul_f64 v[14:15], v[29:30], v[14:15]
	v_add_f64 v[6:7], v[6:7], v[16:17]
	v_div_fmas_f64 v[16:17], v[20:21], v[35:36], v[26:27]
	v_mul_f64 v[14:15], v[24:25], v[14:15]
	v_add_f64 v[6:7], v[31:32], v[6:7]
	v_div_fixup_f64 v[16:17], v[16:17], v[8:9], -1.0
	v_fma_f64 v[6:7], v[14:15], v[6:7], v[16:17]
	v_mul_f64 v[6:7], v[6:7], s[4:5]
	v_fma_f64 v[6:7], v[8:9], v[12:13], v[6:7]
.LBB1_4:
	s_or_b32 exec_lo, exec_lo, s10
.LBB1_5:
	s_or_b32 exec_lo, exec_lo, s9
.LBB1_6:
	s_andn2_saveexec_b32 s5, s8
	s_cbranch_execz .LBB1_16
; %bb.7:
	s_mov_b32 s8, 0x7f3321d2
	s_mov_b32 s9, 0xc002d97c
                                        ; implicit-def: $vgpr29
                                        ; implicit-def: $vgpr12_vgpr13
                                        ; implicit-def: $vgpr14_vgpr15
	v_add_f64 v[6:7], v[8:9], s[8:9]
	v_cmp_ngt_f64_e64 s4, 0x41d00000, |v[6:7]|
	v_trig_preop_f64 v[24:25], |v[6:7]|, 0
	v_trig_preop_f64 v[22:23], |v[6:7]|, 1
	v_ldexp_f64 v[26:27], |v[6:7]|, 0xffffff80
	v_trig_preop_f64 v[20:21], |v[6:7]|, 2
	v_and_b32_e32 v31, 0x7fffffff, v7
	s_and_saveexec_b32 s8, s4
	s_xor_b32 s8, exec_lo, s8
	s_cbranch_execz .LBB1_9
; %bb.8:
	v_cmp_le_f64_e64 vcc_lo, 0x7b000000, |v[6:7]|
	v_mov_b32_e32 v50, 0
	s_mov_b32 s10, 0x54442d18
	s_mov_b32 s11, 0x3ff921fb
	;; [unrolled: 1-line block ×4, first 2 shown]
	v_cndmask_b32_e32 v13, v31, v27, vcc_lo
	v_cndmask_b32_e32 v12, v6, v26, vcc_lo
	v_mul_f64 v[14:15], v[24:25], v[12:13]
	v_mul_f64 v[16:17], v[22:23], v[12:13]
	;; [unrolled: 1-line block ×3, first 2 shown]
	v_fma_f64 v[18:19], v[24:25], v[12:13], -v[14:15]
	v_fma_f64 v[48:49], v[22:23], v[12:13], -v[16:17]
	;; [unrolled: 1-line block ×3, first 2 shown]
	v_add_f64 v[29:30], v[16:17], v[18:19]
	v_add_f64 v[32:33], v[29:30], -v[16:17]
	v_add_f64 v[36:37], v[14:15], v[29:30]
	v_add_f64 v[34:35], v[29:30], -v[32:33]
	v_add_f64 v[18:19], v[18:19], -v[32:33]
	v_ldexp_f64 v[32:33], v[36:37], -2
	v_add_f64 v[14:15], v[36:37], -v[14:15]
	v_add_f64 v[16:17], v[16:17], -v[34:35]
	v_add_f64 v[34:35], v[38:39], v[48:49]
	v_cmp_neq_f64_e64 vcc_lo, 0x7ff00000, |v[32:33]|
	v_add_f64 v[14:15], v[29:30], -v[14:15]
	v_add_f64 v[16:17], v[18:19], v[16:17]
	v_fract_f64_e32 v[18:19], v[32:33]
	v_add_f64 v[29:30], v[34:35], v[16:17]
	v_ldexp_f64 v[18:19], v[18:19], 2
	v_add_f64 v[32:33], v[14:15], v[29:30]
	v_cndmask_b32_e32 v19, 0, v19, vcc_lo
	v_cndmask_b32_e32 v18, 0, v18, vcc_lo
	v_add_f64 v[36:37], v[32:33], v[18:19]
	v_add_f64 v[14:15], v[32:33], -v[14:15]
	v_cmp_gt_f64_e32 vcc_lo, 0, v[36:37]
	v_add_f64 v[36:37], v[34:35], -v[38:39]
	v_add_f64 v[14:15], v[29:30], -v[14:15]
	v_cndmask_b32_e64 v51, 0, 0x40100000, vcc_lo
	v_add_f64 v[64:65], v[34:35], -v[36:37]
	v_add_f64 v[36:37], v[48:49], -v[36:37]
	v_add_f64 v[18:19], v[18:19], v[50:51]
	v_add_f64 v[51:52], v[29:30], -v[34:35]
	v_add_f64 v[48:49], v[38:39], -v[64:65]
	v_add_f64 v[53:54], v[32:33], v[18:19]
	;; [unrolled: 3-line block ×3, first 2 shown]
	v_cvt_i32_f64_e32 v53, v[53:54]
	v_add_f64 v[34:35], v[34:35], -v[66:67]
	v_cvt_f64_i32_e32 v[51:52], v53
	v_add_f64 v[16:17], v[16:17], v[34:35]
	v_add_f64 v[18:19], v[18:19], -v[51:52]
	v_add_f64 v[16:17], v[36:37], v[16:17]
	v_add_f64 v[34:35], v[32:33], v[18:19]
	;; [unrolled: 1-line block ×3, first 2 shown]
	v_add_f64 v[16:17], v[34:35], -v[18:19]
	v_cmp_le_f64_e32 vcc_lo, 0.5, v[34:35]
	v_add_f64 v[12:13], v[14:15], v[12:13]
	v_add_f64 v[14:15], v[32:33], -v[16:17]
	v_cndmask_b32_e64 v51, 0, 0x3ff00000, vcc_lo
	v_add_co_ci_u32_e64 v29, null, 0, v53, vcc_lo
	v_add_f64 v[12:13], v[12:13], v[14:15]
	v_add_f64 v[14:15], v[34:35], -v[50:51]
	v_add_f64 v[16:17], v[14:15], v[12:13]
	v_mul_f64 v[18:19], v[16:17], s[10:11]
	v_add_f64 v[14:15], v[16:17], -v[14:15]
	v_fma_f64 v[32:33], v[16:17], s[10:11], -v[18:19]
	v_add_f64 v[12:13], v[12:13], -v[14:15]
	v_fma_f64 v[14:15], v[16:17], s[12:13], v[32:33]
	v_fma_f64 v[14:15], v[12:13], s[10:11], v[14:15]
	v_add_f64 v[12:13], v[18:19], v[14:15]
	v_add_f64 v[16:17], v[12:13], -v[18:19]
	v_add_f64 v[14:15], v[14:15], -v[16:17]
	s_andn2_saveexec_b32 s8, s8
	s_cbranch_execz .LBB1_11
	s_branch .LBB1_10
.LBB1_9:
	s_andn2_saveexec_b32 s8, s8
	s_cbranch_execz .LBB1_11
.LBB1_10:
	s_mov_b32 s10, 0x6dc9c883
	s_mov_b32 s11, 0x3fe45f30
	;; [unrolled: 1-line block ×3, first 2 shown]
	v_mul_f64 v[12:13], |v[6:7]|, s[10:11]
	s_mov_b32 s10, 0x54442d18
	s_mov_b32 s11, 0xbff921fb
	;; [unrolled: 1-line block ×3, first 2 shown]
	v_rndne_f64_e32 v[16:17], v[12:13]
	v_fma_f64 v[12:13], v[16:17], s[10:11], |v[6:7]|
	v_mul_f64 v[14:15], v[16:17], s[12:13]
	s_mov_b32 s10, 0x252049c0
	s_mov_b32 s11, 0xb97b839a
	v_fma_f64 v[29:30], v[16:17], s[12:13], v[12:13]
	v_add_f64 v[18:19], v[12:13], v[14:15]
	s_mov_b32 s13, 0x3c91a626
	v_add_f64 v[12:13], v[12:13], -v[18:19]
	v_add_f64 v[18:19], v[18:19], -v[29:30]
	v_add_f64 v[12:13], v[12:13], v[14:15]
	v_fma_f64 v[14:15], v[16:17], s[12:13], v[14:15]
	v_add_f64 v[12:13], v[18:19], v[12:13]
	v_add_f64 v[12:13], v[12:13], -v[14:15]
	v_fma_f64 v[14:15], v[16:17], s[10:11], v[12:13]
	v_add_f64 v[12:13], v[29:30], v[14:15]
	v_add_f64 v[18:19], v[12:13], -v[29:30]
	v_cvt_i32_f64_e32 v29, v[16:17]
	v_add_f64 v[14:15], v[14:15], -v[18:19]
.LBB1_11:
	s_or_b32 exec_lo, exec_lo, s8
                                        ; implicit-def: $vgpr30
                                        ; implicit-def: $vgpr16_vgpr17
                                        ; implicit-def: $vgpr18_vgpr19
	s_and_saveexec_b32 s8, s4
	s_xor_b32 s4, exec_lo, s8
	s_cbranch_execz .LBB1_13
; %bb.12:
	v_cmp_le_f64_e64 vcc_lo, 0x7b000000, |v[6:7]|
	v_mov_b32_e32 v48, 0
	s_mov_b32 s8, 0x54442d18
	s_mov_b32 s9, 0x3ff921fb
	;; [unrolled: 1-line block ×4, first 2 shown]
	v_cndmask_b32_e32 v17, v31, v27, vcc_lo
	v_cndmask_b32_e32 v16, v6, v26, vcc_lo
	v_mul_f64 v[18:19], v[24:25], v[16:17]
	v_mul_f64 v[26:27], v[22:23], v[16:17]
	;; [unrolled: 1-line block ×3, first 2 shown]
	v_fma_f64 v[24:25], v[24:25], v[16:17], -v[18:19]
	v_fma_f64 v[22:23], v[22:23], v[16:17], -v[26:27]
	;; [unrolled: 1-line block ×3, first 2 shown]
	v_add_f64 v[30:31], v[26:27], v[24:25]
	v_add_f64 v[32:33], v[30:31], -v[26:27]
	v_add_f64 v[36:37], v[18:19], v[30:31]
	v_add_f64 v[34:35], v[30:31], -v[32:33]
	v_add_f64 v[24:25], v[24:25], -v[32:33]
	v_ldexp_f64 v[32:33], v[36:37], -2
	v_add_f64 v[18:19], v[36:37], -v[18:19]
	v_add_f64 v[26:27], v[26:27], -v[34:35]
	v_add_f64 v[34:35], v[38:39], v[22:23]
	v_cmp_neq_f64_e64 vcc_lo, 0x7ff00000, |v[32:33]|
	v_add_f64 v[18:19], v[30:31], -v[18:19]
	v_add_f64 v[24:25], v[24:25], v[26:27]
	v_fract_f64_e32 v[26:27], v[32:33]
	v_add_f64 v[30:31], v[34:35], v[24:25]
	v_ldexp_f64 v[26:27], v[26:27], 2
	v_add_f64 v[32:33], v[18:19], v[30:31]
	v_cndmask_b32_e32 v27, 0, v27, vcc_lo
	v_cndmask_b32_e32 v26, 0, v26, vcc_lo
	v_add_f64 v[36:37], v[32:33], v[26:27]
	v_add_f64 v[18:19], v[32:33], -v[18:19]
	v_cmp_gt_f64_e32 vcc_lo, 0, v[36:37]
	v_add_f64 v[36:37], v[34:35], -v[38:39]
	v_add_f64 v[18:19], v[30:31], -v[18:19]
	v_cndmask_b32_e64 v49, 0, 0x40100000, vcc_lo
	v_add_f64 v[53:54], v[34:35], -v[36:37]
	v_add_f64 v[22:23], v[22:23], -v[36:37]
	v_add_f64 v[26:27], v[26:27], v[48:49]
	v_add_f64 v[49:50], v[30:31], -v[34:35]
	v_add_f64 v[36:37], v[38:39], -v[53:54]
	v_add_f64 v[51:52], v[32:33], v[26:27]
	;; [unrolled: 3-line block ×3, first 2 shown]
	v_cvt_i32_f64_e32 v51, v[51:52]
	v_add_f64 v[34:35], v[34:35], -v[64:65]
	v_cvt_f64_i32_e32 v[49:50], v51
	v_add_f64 v[24:25], v[24:25], v[34:35]
	v_add_f64 v[26:27], v[26:27], -v[49:50]
	v_add_f64 v[20:21], v[22:23], v[24:25]
	v_add_f64 v[22:23], v[32:33], v[26:27]
	v_add_f64 v[16:17], v[16:17], v[20:21]
	v_add_f64 v[20:21], v[22:23], -v[26:27]
	v_cmp_le_f64_e32 vcc_lo, 0.5, v[22:23]
	v_add_f64 v[16:17], v[18:19], v[16:17]
	v_add_f64 v[18:19], v[32:33], -v[20:21]
	v_cndmask_b32_e64 v49, 0, 0x3ff00000, vcc_lo
	v_add_co_ci_u32_e64 v30, null, 0, v51, vcc_lo
	v_add_f64 v[16:17], v[16:17], v[18:19]
	v_add_f64 v[18:19], v[22:23], -v[48:49]
	v_add_f64 v[20:21], v[18:19], v[16:17]
	v_mul_f64 v[22:23], v[20:21], s[8:9]
	v_add_f64 v[18:19], v[20:21], -v[18:19]
	v_fma_f64 v[24:25], v[20:21], s[8:9], -v[22:23]
	v_add_f64 v[16:17], v[16:17], -v[18:19]
	v_fma_f64 v[18:19], v[20:21], s[10:11], v[24:25]
	v_fma_f64 v[18:19], v[16:17], s[8:9], v[18:19]
	v_add_f64 v[16:17], v[22:23], v[18:19]
	v_add_f64 v[20:21], v[16:17], -v[22:23]
	v_add_f64 v[18:19], v[18:19], -v[20:21]
	s_andn2_saveexec_b32 s4, s4
	s_cbranch_execnz .LBB1_14
	s_branch .LBB1_15
.LBB1_13:
	s_andn2_saveexec_b32 s4, s4
	s_cbranch_execz .LBB1_15
.LBB1_14:
	s_mov_b32 s8, 0x6dc9c883
	s_mov_b32 s9, 0x3fe45f30
	;; [unrolled: 1-line block ×3, first 2 shown]
	v_mul_f64 v[16:17], |v[6:7]|, s[8:9]
	s_mov_b32 s8, 0x54442d18
	s_mov_b32 s9, 0xbff921fb
	;; [unrolled: 1-line block ×3, first 2 shown]
	v_rndne_f64_e32 v[20:21], v[16:17]
	v_fma_f64 v[16:17], v[20:21], s[8:9], |v[6:7]|
	v_mul_f64 v[18:19], v[20:21], s[10:11]
	s_mov_b32 s8, 0x252049c0
	s_mov_b32 s9, 0xb97b839a
	v_cvt_i32_f64_e32 v30, v[20:21]
	v_fma_f64 v[24:25], v[20:21], s[10:11], v[16:17]
	v_add_f64 v[22:23], v[16:17], v[18:19]
	s_mov_b32 s11, 0x3c91a626
	v_add_f64 v[16:17], v[16:17], -v[22:23]
	v_add_f64 v[22:23], v[22:23], -v[24:25]
	v_add_f64 v[16:17], v[16:17], v[18:19]
	v_fma_f64 v[18:19], v[20:21], s[10:11], v[18:19]
	v_add_f64 v[16:17], v[22:23], v[16:17]
	v_add_f64 v[16:17], v[16:17], -v[18:19]
	v_fma_f64 v[18:19], v[20:21], s[8:9], v[16:17]
	v_add_f64 v[16:17], v[24:25], v[18:19]
	v_add_f64 v[22:23], v[16:17], -v[24:25]
	v_add_f64 v[18:19], v[18:19], -v[22:23]
.LBB1_15:
	s_or_b32 exec_lo, exec_lo, s4
	v_div_scale_f64 v[20:21], null, v[8:9], v[8:9], 0x40140000
	s_mov_b32 s8, 0x4c6c651b
	s_mov_b32 s9, 0x3f48f92c
	s_mov_b32 s10, 0x46cc5e42
	s_mov_b32 s11, 0xbda907db
	s_mov_b32 s12, 0xa17f65f6
	s_mov_b32 s13, 0xbe927e4f
	s_mov_b32 s24, 0x19f4ec90
	s_mov_b32 s25, 0x3efa01a0
	s_mov_b32 s26, 0x16c16967
	s_mov_b32 s27, 0xbf56c16c
	s_mov_b32 s40, 0x55555555
	s_mov_b32 s41, 0x3fa55555
	s_mov_b32 s14, 0xb42fdfa7
	s_mov_b32 s16, 0xf9a43bb8
	s_mov_b32 s15, 0xbe5ae600
	s_mov_b32 s17, 0x3de5e0b2
	s_mov_b32 s28, 0x796cde01
	s_mov_b32 s29, 0x3ec71de3
	s_mov_b32 s18, 0x19e83e5c
	s_mov_b32 s19, 0xbf2a01a0
	v_rcp_f64_e32 v[22:23], v[20:21]
	s_mov_b32 s22, 0x11110bb3
	s_mov_b32 s23, 0x3f811111
	;; [unrolled: 1-line block ×4, first 2 shown]
	v_cmp_class_f64_e64 s4, v[6:7], 0x1f8
	v_fma_f64 v[24:25], -v[20:21], v[22:23], 1.0
	v_fma_f64 v[22:23], v[22:23], v[24:25], v[22:23]
	v_fma_f64 v[24:25], -v[20:21], v[22:23], 1.0
	v_fma_f64 v[22:23], v[22:23], v[24:25], v[22:23]
	v_div_scale_f64 v[24:25], vcc_lo, 0x40140000, v[8:9], 0x40140000
	v_mul_f64 v[26:27], v[24:25], v[22:23]
	v_fma_f64 v[20:21], -v[20:21], v[26:27], v[24:25]
	v_div_fmas_f64 v[20:21], v[20:21], v[22:23], v[26:27]
	v_div_fixup_f64 v[20:21], v[20:21], v[8:9], 0x40140000
	v_mul_f64 v[22:23], v[20:21], v[20:21]
	v_fma_f64 v[24:25], v[22:23], 0, s[8:9]
	s_mov_b32 s8, 0xa3fec4b6
	s_mov_b32 s9, 0x3fb2b948
	v_fma_f64 v[24:25], v[22:23], v[24:25], s[8:9]
	s_mov_b32 s8, 0xc21596d6
	s_mov_b32 s9, 0x3ff208fe
	;; [unrolled: 3-line block ×13, first 2 shown]
	v_fma_f64 v[26:27], v[22:23], v[26:27], 1.0
	v_fma_f64 v[31:32], v[22:23], v[31:32], s[8:9]
	s_mov_b32 s8, 0x9acf1c67
	s_mov_b32 s9, 0x4052f4b9
	v_fma_f64 v[31:32], v[22:23], v[31:32], s[8:9]
	s_mov_b32 s8, 0x47aa180d
	s_mov_b32 s9, 0x4076ec79
	;; [unrolled: 3-line block ×13, first 2 shown]
	v_fma_f64 v[33:34], v[22:23], v[33:34], s[8:9]
	v_fma_f64 v[22:23], v[22:23], v[24:25], 1.0
	s_mov_b32 s8, 0x9037ab78
	s_mov_b32 s9, 0x3e21eeb6
	v_div_scale_f64 v[24:25], null, v[26:27], v[26:27], v[22:23]
	v_rcp_f64_e32 v[35:36], v[24:25]
	v_fma_f64 v[37:38], -v[24:25], v[35:36], 1.0
	v_fma_f64 v[35:36], v[35:36], v[37:38], v[35:36]
	v_fma_f64 v[37:38], -v[24:25], v[35:36], 1.0
	v_fma_f64 v[35:36], v[35:36], v[37:38], v[35:36]
	v_div_scale_f64 v[37:38], vcc_lo, v[22:23], v[26:27], v[22:23]
	v_mul_f64 v[48:49], v[37:38], v[35:36]
	v_fma_f64 v[24:25], -v[24:25], v[48:49], v[37:38]
	v_div_fmas_f64 v[24:25], v[24:25], v[35:36], v[48:49]
	v_div_fixup_f64 v[22:23], v[24:25], v[26:27], v[22:23]
	v_mul_f64 v[24:25], v[12:13], v[12:13]
	v_mul_f64 v[26:27], v[24:25], 0.5
	v_fma_f64 v[48:49], v[24:25], s[10:11], s[8:9]
	v_add_f64 v[35:36], -v[26:27], 1.0
	v_fma_f64 v[48:49], v[24:25], v[48:49], s[12:13]
	v_add_f64 v[37:38], -v[35:36], 1.0
	v_fma_f64 v[48:49], v[24:25], v[48:49], s[24:25]
	v_add_f64 v[26:27], v[37:38], -v[26:27]
	v_fma_f64 v[48:49], v[24:25], v[48:49], s[26:27]
	v_mul_f64 v[37:38], v[24:25], v[24:25]
	v_fma_f64 v[26:27], v[12:13], -v[14:15], v[26:27]
	v_fma_f64 v[48:49], v[24:25], v[48:49], s[40:41]
	v_fma_f64 v[26:27], v[37:38], v[48:49], v[26:27]
	v_mul_f64 v[37:38], v[12:13], -v[24:25]
	v_mul_f64 v[48:49], v[14:15], 0.5
	v_add_f64 v[26:27], v[35:36], v[26:27]
	v_fma_f64 v[35:36], v[24:25], s[16:17], s[14:15]
	v_fma_f64 v[35:36], v[24:25], v[35:36], s[28:29]
	;; [unrolled: 1-line block ×5, first 2 shown]
	v_fma_f64 v[14:15], v[24:25], v[35:36], -v[14:15]
	v_fma_f64 v[14:15], v[37:38], s[20:21], v[14:15]
	v_add_f64 v[12:13], v[12:13], -v[14:15]
	v_and_b32_e32 v14, 1, v29
	v_cmp_eq_u32_e32 vcc_lo, 0, v14
	v_lshlrev_b32_e32 v14, 30, v29
	v_xor_b32_e32 v14, v14, v7
	v_and_b32_e32 v14, 0x80000000, v14
	v_cndmask_b32_e32 v13, v27, v13, vcc_lo
	v_cndmask_b32_e32 v12, v26, v12, vcc_lo
	v_xor_b32_e32 v13, v13, v14
	v_cndmask_b32_e64 v6, 0, v12, s4
	v_cndmask_b32_e64 v7, 0x7ff80000, v13, s4
	v_div_scale_f64 v[12:13], null, v[33:34], v[33:34], v[31:32]
	v_rcp_f64_e32 v[14:15], v[12:13]
	v_fma_f64 v[24:25], -v[12:13], v[14:15], 1.0
	v_fma_f64 v[14:15], v[14:15], v[24:25], v[14:15]
	v_fma_f64 v[24:25], -v[12:13], v[14:15], 1.0
	v_fma_f64 v[14:15], v[14:15], v[24:25], v[14:15]
	v_div_scale_f64 v[24:25], vcc_lo, v[31:32], v[33:34], v[31:32]
	v_mul_f64 v[26:27], v[24:25], v[14:15]
	v_fma_f64 v[12:13], -v[12:13], v[26:27], v[24:25]
	v_div_fmas_f64 v[12:13], v[12:13], v[14:15], v[26:27]
	v_mul_f64 v[14:15], v[16:17], v[16:17]
	v_div_fixup_f64 v[12:13], v[12:13], v[33:34], v[31:32]
	v_fma_f64 v[31:32], v[14:15], s[10:11], s[8:9]
	s_mov_b32 s8, 0x33d43651
	s_mov_b32 s9, 0x3fe98845
	v_mul_f64 v[12:13], v[20:21], v[12:13]
	v_mul_f64 v[20:21], v[14:15], 0.5
	v_fma_f64 v[31:32], v[14:15], v[31:32], s[12:13]
	v_add_f64 v[24:25], -v[20:21], 1.0
	v_fma_f64 v[31:32], v[14:15], v[31:32], s[24:25]
	v_add_f64 v[26:27], -v[24:25], 1.0
	v_fma_f64 v[31:32], v[14:15], v[31:32], s[26:27]
	v_add_f64 v[20:21], v[26:27], -v[20:21]
	v_mul_f64 v[26:27], v[14:15], v[14:15]
	v_fma_f64 v[31:32], v[14:15], v[31:32], s[40:41]
	v_fma_f64 v[20:21], v[16:17], -v[18:19], v[20:21]
	v_fma_f64 v[20:21], v[26:27], v[31:32], v[20:21]
	v_mul_f64 v[26:27], v[16:17], -v[14:15]
	v_mul_f64 v[31:32], v[18:19], 0.5
	v_add_f64 v[20:21], v[24:25], v[20:21]
	v_fma_f64 v[24:25], v[14:15], s[16:17], s[14:15]
	v_fma_f64 v[24:25], v[14:15], v[24:25], s[28:29]
	;; [unrolled: 1-line block ×5, first 2 shown]
	v_fma_f64 v[14:15], v[14:15], v[24:25], -v[18:19]
	v_fma_f64 v[14:15], v[26:27], s[20:21], v[14:15]
	v_add_f64 v[14:15], v[16:17], -v[14:15]
	v_and_b32_e32 v16, 1, v30
	v_cmp_eq_u32_e32 vcc_lo, 0, v16
	v_lshlrev_b32_e32 v16, 30, v30
	v_and_b32_e32 v16, 0x80000000, v16
	v_xor_b32_e32 v15, 0x80000000, v15
	v_cndmask_b32_e32 v14, v14, v20, vcc_lo
	v_cndmask_b32_e32 v15, v15, v21, vcc_lo
	v_cndmask_b32_e64 v14, 0, v14, s4
	v_cmp_gt_f64_e32 vcc_lo, 0x10000000, v[8:9]
	v_xor_b32_e32 v15, v15, v16
	v_cndmask_b32_e64 v15, 0x7ff80000, v15, s4
	v_mul_f64 v[12:13], v[12:13], v[14:15]
	v_fma_f64 v[6:7], v[22:23], v[6:7], v[12:13]
	v_cndmask_b32_e64 v12, 0, 0x100, vcc_lo
	v_ldexp_f64 v[8:9], v[8:9], v12
	v_mul_f64 v[6:7], v[6:7], s[8:9]
	v_rsq_f64_e32 v[12:13], v[8:9]
	v_mul_f64 v[14:15], v[8:9], v[12:13]
	v_mul_f64 v[12:13], v[12:13], 0.5
	v_fma_f64 v[16:17], -v[12:13], v[14:15], 0.5
	v_fma_f64 v[14:15], v[14:15], v[16:17], v[14:15]
	v_fma_f64 v[12:13], v[12:13], v[16:17], v[12:13]
	v_fma_f64 v[18:19], -v[14:15], v[14:15], v[8:9]
	v_fma_f64 v[14:15], v[18:19], v[12:13], v[14:15]
	v_fma_f64 v[16:17], -v[14:15], v[14:15], v[8:9]
	v_fma_f64 v[12:13], v[16:17], v[12:13], v[14:15]
	v_cndmask_b32_e64 v14, 0, 0xffffff80, vcc_lo
	v_cmp_class_f64_e64 vcc_lo, v[8:9], 0x260
	v_ldexp_f64 v[12:13], v[12:13], v14
	v_cndmask_b32_e32 v9, v13, v9, vcc_lo
	v_cndmask_b32_e32 v8, v12, v8, vcc_lo
	v_div_scale_f64 v[12:13], null, v[8:9], v[8:9], v[6:7]
	v_rcp_f64_e32 v[14:15], v[12:13]
	v_fma_f64 v[16:17], -v[12:13], v[14:15], 1.0
	v_fma_f64 v[14:15], v[14:15], v[16:17], v[14:15]
	v_fma_f64 v[16:17], -v[12:13], v[14:15], 1.0
	v_fma_f64 v[14:15], v[14:15], v[16:17], v[14:15]
	v_div_scale_f64 v[16:17], vcc_lo, v[6:7], v[8:9], v[6:7]
	v_mul_f64 v[18:19], v[16:17], v[14:15]
	v_fma_f64 v[12:13], -v[12:13], v[18:19], v[16:17]
	v_div_fmas_f64 v[12:13], v[12:13], v[14:15], v[18:19]
	v_div_fixup_f64 v[6:7], v[12:13], v[8:9], v[6:7]
.LBB1_16:
	s_or_b32 exec_lo, exec_lo, s5
	s_mov_b32 s4, exec_lo
	v_cmpx_ge_f64_e32 0x40140000, v[10:11]
	s_xor_b32 s8, exec_lo, s4
	s_cbranch_execz .LBB1_22
; %bb.17:
	v_mov_b32_e32 v8, 0
	v_mov_b32_e32 v9, 0xfff00000
	s_mov_b32 s9, exec_lo
	v_cmpx_neq_f64_e32 0, v[10:11]
	s_cbranch_execz .LBB1_21
; %bb.18:
	v_mov_b32_e32 v8, 0
	v_mov_b32_e32 v9, 0x7ff80000
	s_mov_b32 s10, exec_lo
	v_cmpx_nge_f64_e32 0, v[10:11]
	s_cbranch_execz .LBB1_20
; %bb.19:
	v_frexp_mant_f64_e32 v[8:9], v[10:11]
	s_mov_b32 s5, 0x3fe55555
	s_mov_b32 s4, 0x55555555
	;; [unrolled: 1-line block ×8, first 2 shown]
	v_frexp_exp_i32_f64_e32 v33, v[10:11]
	s_mov_b32 s18, 0xfefa39ef
	s_mov_b32 s19, 0x3fe62e42
	v_cmp_gt_f64_e32 vcc_lo, s[4:5], v[8:9]
	s_mov_b32 s4, 0x55555780
	v_cndmask_b32_e64 v12, 0, 1, vcc_lo
	v_ldexp_f64 v[8:9], v[8:9], v12
	v_add_f64 v[12:13], v[8:9], 1.0
	v_add_f64 v[18:19], v[8:9], -1.0
	v_rcp_f64_e32 v[14:15], v[12:13]
	v_add_f64 v[20:21], v[12:13], -1.0
	v_add_f64 v[8:9], v[8:9], -v[20:21]
	v_fma_f64 v[16:17], -v[12:13], v[14:15], 1.0
	v_fma_f64 v[14:15], v[16:17], v[14:15], v[14:15]
	v_fma_f64 v[16:17], -v[12:13], v[14:15], 1.0
	v_fma_f64 v[14:15], v[16:17], v[14:15], v[14:15]
	v_mul_f64 v[16:17], v[18:19], v[14:15]
	v_mul_f64 v[22:23], v[12:13], v[16:17]
	v_fma_f64 v[12:13], v[16:17], v[12:13], -v[22:23]
	v_fma_f64 v[8:9], v[16:17], v[8:9], v[12:13]
	v_add_f64 v[12:13], v[22:23], v[8:9]
	v_add_f64 v[20:21], v[18:19], -v[12:13]
	v_add_f64 v[22:23], v[12:13], -v[22:23]
	;; [unrolled: 1-line block ×5, first 2 shown]
	v_add_f64 v[8:9], v[8:9], v[12:13]
	v_add_f64 v[8:9], v[20:21], v[8:9]
	v_mul_f64 v[20:21], v[10:11], v[10:11]
	v_mul_f64 v[8:9], v[14:15], v[8:9]
	v_add_f64 v[12:13], v[16:17], v[8:9]
	v_mul_f64 v[14:15], v[12:13], v[12:13]
	v_ldexp_f64 v[31:32], v[12:13], 1
	v_fma_f64 v[18:19], v[14:15], s[14:15], s[12:13]
	s_mov_b32 s12, 0xd7f4df2e
	s_mov_b32 s13, 0x3fc7474d
	;; [unrolled: 1-line block ×4, first 2 shown]
	v_mul_f64 v[29:30], v[12:13], v[14:15]
	v_fma_f64 v[24:25], v[20:21], 0, s[14:15]
	s_mov_b32 s14, 0xdd701b2
	s_mov_b32 s15, 0x410f5eda
	v_add_f64 v[12:13], v[12:13], -v[16:17]
	v_fma_f64 v[18:19], v[14:15], v[18:19], s[12:13]
	s_mov_b32 s12, 0xa93f7ac2
	s_mov_b32 s13, 0x40829269
	v_fma_f64 v[22:23], v[20:21], 0, s[12:13]
	s_mov_b32 s12, 0x16291751
	s_mov_b32 s13, 0x3fcc71c0
	;; [unrolled: 3-line block ×3, first 2 shown]
	v_add_f64 v[8:9], v[8:9], -v[12:13]
	v_fma_f64 v[18:19], v[14:15], v[18:19], s[12:13]
	s_mov_b32 s12, 0xbe58ef7f
	s_mov_b32 s13, 0x410cc160
	v_fma_f64 v[22:23], v[20:21], v[22:23], s[12:13]
	s_mov_b32 s12, 0x9b27acf1
	s_mov_b32 s13, 0x3fd24924
	;; [unrolled: 3-line block ×3, first 2 shown]
	v_ldexp_f64 v[8:9], v[8:9], 1
	v_fma_f64 v[18:19], v[14:15], v[18:19], s[12:13]
	s_mov_b32 s12, 0x62f9b6c5
	s_mov_b32 s13, 0x41d2d2be
	v_fma_f64 v[26:27], v[20:21], 0, s[12:13]
	v_fma_f64 v[22:23], v[20:21], v[22:23], s[14:15]
	s_mov_b32 s12, 0x998ef7b6
	s_mov_b32 s13, 0x3fd99999
	;; [unrolled: 1-line block ×4, first 2 shown]
	v_fma_f64 v[24:25], v[20:21], v[24:25], s[16:17]
	s_mov_b32 s16, 0x8076ffa8
	s_mov_b32 s17, 0x429146fb
	v_fma_f64 v[18:19], v[14:15], v[18:19], s[12:13]
	s_mov_b32 s12, 0x58836521
	s_mov_b32 s13, 0xc262d72d
	v_fma_f64 v[26:27], v[20:21], v[26:27], s[12:13]
	v_fma_f64 v[22:23], v[20:21], v[22:23], s[14:15]
	s_mov_b32 s12, 0xfda99316
	s_mov_b32 s14, 0x4cda4fc5
	;; [unrolled: 1-line block ×4, first 2 shown]
	v_fma_f64 v[24:25], v[20:21], v[24:25], s[16:17]
	s_mov_b32 s16, 0x3eccf45f
	s_mov_b32 s17, 0x43064b0a
	v_fma_f64 v[14:15], v[14:15], v[18:19], s[4:5]
	s_mov_b32 s4, 0xb0910fef
	s_mov_b32 s5, 0x42da0954
	v_fma_f64 v[18:19], v[20:21], v[26:27], s[4:5]
	v_fma_f64 v[22:23], v[20:21], v[22:23], s[12:13]
	;; [unrolled: 1-line block ×3, first 2 shown]
	s_mov_b32 s4, 0x37a1b083
	s_mov_b32 s12, 0xd71d1e4e
	;; [unrolled: 1-line block ×6, first 2 shown]
	v_fma_f64 v[24:25], v[20:21], v[24:25], s[16:17]
	s_mov_b32 s16, 0xf4653f81
	s_mov_b32 s17, 0x4373e0bf
	v_mul_f64 v[14:15], v[29:30], v[14:15]
	v_subrev_co_ci_u32_e64 v29, null, 0, v33, vcc_lo
	v_fma_f64 v[18:19], v[20:21], v[18:19], s[4:5]
	v_fma_f64 v[22:23], v[20:21], v[22:23], s[12:13]
	;; [unrolled: 1-line block ×3, first 2 shown]
	v_cvt_f64_i32_e32 v[29:30], v29
	s_mov_b32 s4, 0xb7366b1
	s_mov_b32 s12, 0xc547a488
	;; [unrolled: 1-line block ×6, first 2 shown]
	v_fma_f64 v[24:25], v[20:21], v[24:25], s[16:17]
	s_mov_b32 s16, 0xa697c482
	s_mov_b32 s17, 0x432a2b42
	v_add_f64 v[16:17], v[31:32], v[14:15]
	v_fma_f64 v[18:19], v[20:21], v[18:19], s[4:5]
	v_fma_f64 v[22:23], v[20:21], v[22:23], s[12:13]
	;; [unrolled: 1-line block ×3, first 2 shown]
	v_mul_f64 v[33:34], v[29:30], s[18:19]
	s_mov_b32 s4, 0x90f6747f
	s_mov_b32 s12, 0x5dde2b17
	;; [unrolled: 1-line block ×6, first 2 shown]
	v_add_f64 v[12:13], v[16:17], -v[31:32]
	v_fma_f64 v[18:19], v[20:21], v[18:19], s[12:13]
	v_fma_f64 v[22:23], v[20:21], v[22:23], s[4:5]
	;; [unrolled: 1-line block ×4, first 2 shown]
	v_fma_f64 v[24:25], v[29:30], s[18:19], -v[33:34]
	s_mov_b32 s4, 0x3b39803f
	s_mov_b32 s5, 0x3c7abc9e
	v_add_f64 v[12:13], v[14:15], -v[12:13]
	v_div_scale_f64 v[14:15], null, v[22:23], v[22:23], v[18:19]
	v_div_scale_f64 v[31:32], null, v[20:21], v[20:21], v[26:27]
	v_fma_f64 v[24:25], v[29:30], s[4:5], v[24:25]
	v_add_f64 v[8:9], v[8:9], v[12:13]
	v_rcp_f64_e32 v[12:13], v[14:15]
	v_rcp_f64_e32 v[29:30], v[31:32]
	v_add_f64 v[35:36], v[33:34], v[24:25]
	v_add_f64 v[37:38], v[16:17], v[8:9]
	v_fma_f64 v[48:49], -v[14:15], v[12:13], 1.0
	v_fma_f64 v[50:51], -v[31:32], v[29:30], 1.0
	v_add_f64 v[33:34], v[35:36], -v[33:34]
	v_add_f64 v[52:53], v[35:36], v[37:38]
	v_add_f64 v[16:17], v[37:38], -v[16:17]
	v_fma_f64 v[12:13], v[12:13], v[48:49], v[12:13]
	v_fma_f64 v[29:30], v[29:30], v[50:51], v[29:30]
	v_div_scale_f64 v[50:51], null, v[10:11], v[10:11], -1.0
	v_add_f64 v[24:25], v[24:25], -v[33:34]
	v_div_scale_f64 v[33:34], vcc_lo, v[18:19], v[22:23], v[18:19]
	v_add_f64 v[48:49], v[52:53], -v[35:36]
	v_add_f64 v[8:9], v[8:9], -v[16:17]
	v_fma_f64 v[54:55], -v[14:15], v[12:13], 1.0
	v_fma_f64 v[64:65], -v[31:32], v[29:30], 1.0
	v_rcp_f64_e32 v[68:69], v[50:51]
	v_add_f64 v[66:67], v[52:53], -v[48:49]
	v_add_f64 v[16:17], v[37:38], -v[48:49]
	v_fma_f64 v[12:13], v[12:13], v[54:55], v[12:13]
	v_div_scale_f64 v[54:55], s4, v[26:27], v[20:21], v[26:27]
	v_fma_f64 v[29:30], v[29:30], v[64:65], v[29:30]
	v_fma_f64 v[37:38], -v[50:51], v[68:69], 1.0
	v_add_f64 v[35:36], v[35:36], -v[66:67]
	v_add_f64 v[66:67], v[24:25], v[8:9]
	v_mul_f64 v[48:49], v[33:34], v[12:13]
	v_mul_f64 v[64:65], v[54:55], v[29:30]
	v_add_f64 v[16:17], v[16:17], v[35:36]
	v_fma_f64 v[35:36], v[68:69], v[37:38], v[68:69]
	v_fma_f64 v[14:15], -v[14:15], v[48:49], v[33:34]
	v_add_f64 v[33:34], v[66:67], -v[24:25]
	v_fma_f64 v[31:32], -v[31:32], v[64:65], v[54:55]
	v_add_f64 v[16:17], v[66:67], v[16:17]
	v_fma_f64 v[37:38], -v[50:51], v[35:36], 1.0
	v_div_fmas_f64 v[12:13], v[14:15], v[12:13], v[48:49]
	s_mov_b32 vcc_lo, s4
	v_add_f64 v[8:9], v[8:9], -v[33:34]
	v_div_fmas_f64 v[14:15], v[31:32], v[29:30], v[64:65]
	v_add_f64 v[29:30], v[66:67], -v[33:34]
	v_div_scale_f64 v[48:49], vcc_lo, -1.0, v[10:11], -1.0
	s_mov_b32 s4, 0x4189822c
	s_mov_b32 s5, 0xc02d5d2b
	v_add_f64 v[31:32], v[52:53], v[16:17]
	v_fma_f64 v[35:36], v[35:36], v[37:38], v[35:36]
	v_div_fixup_f64 v[12:13], v[12:13], v[22:23], v[18:19]
	v_div_fixup_f64 v[14:15], v[14:15], v[20:21], v[26:27]
	v_add_f64 v[20:21], v[24:25], -v[29:30]
	v_fma_f64 v[29:30], v[10:11], v[10:11], s[4:5]
	s_mov_b32 s4, 0x6072a432
	s_mov_b32 s5, 0xc0489bf6
	v_add_f64 v[24:25], v[31:32], -v[52:53]
	v_mul_f64 v[26:27], v[48:49], v[35:36]
	v_mul_f64 v[14:15], v[10:11], v[14:15]
	v_add_f64 v[8:9], v[8:9], v[20:21]
	v_add_f64 v[16:17], v[16:17], -v[24:25]
	v_fma_f64 v[20:21], -v[50:51], v[26:27], v[48:49]
	v_fma_f64 v[24:25], v[10:11], v[10:11], s[4:5]
	s_mov_b32 s4, 0x6dc9c883
	s_mov_b32 s5, 0x3fe45f30
	v_mul_f64 v[14:15], v[29:30], v[14:15]
	v_add_f64 v[8:9], v[8:9], v[16:17]
	v_div_fmas_f64 v[16:17], v[20:21], v[35:36], v[26:27]
	v_mul_f64 v[14:15], v[24:25], v[14:15]
	v_add_f64 v[8:9], v[31:32], v[8:9]
	v_div_fixup_f64 v[16:17], v[16:17], v[10:11], -1.0
	v_fma_f64 v[8:9], v[14:15], v[8:9], v[16:17]
	v_mul_f64 v[8:9], v[8:9], s[4:5]
	v_fma_f64 v[8:9], v[10:11], v[12:13], v[8:9]
.LBB1_20:
	s_or_b32 exec_lo, exec_lo, s10
.LBB1_21:
	s_or_b32 exec_lo, exec_lo, s9
                                        ; implicit-def: $vgpr10_vgpr11
.LBB1_22:
	s_andn2_saveexec_b32 s5, s8
	s_cbranch_execz .LBB1_32
; %bb.23:
	s_mov_b32 s8, 0x7f3321d2
	s_mov_b32 s9, 0xc002d97c
                                        ; implicit-def: $vgpr29
                                        ; implicit-def: $vgpr12_vgpr13
                                        ; implicit-def: $vgpr14_vgpr15
	v_add_f64 v[8:9], v[10:11], s[8:9]
	v_cmp_ngt_f64_e64 s4, 0x41d00000, |v[8:9]|
	v_trig_preop_f64 v[24:25], |v[8:9]|, 0
	v_trig_preop_f64 v[22:23], |v[8:9]|, 1
	v_ldexp_f64 v[26:27], |v[8:9]|, 0xffffff80
	v_trig_preop_f64 v[20:21], |v[8:9]|, 2
	v_and_b32_e32 v31, 0x7fffffff, v9
	s_and_saveexec_b32 s8, s4
	s_xor_b32 s8, exec_lo, s8
	s_cbranch_execz .LBB1_25
; %bb.24:
	v_cmp_le_f64_e64 vcc_lo, 0x7b000000, |v[8:9]|
	v_mov_b32_e32 v50, 0
	s_mov_b32 s10, 0x54442d18
	s_mov_b32 s11, 0x3ff921fb
	;; [unrolled: 1-line block ×4, first 2 shown]
	v_cndmask_b32_e32 v13, v31, v27, vcc_lo
	v_cndmask_b32_e32 v12, v8, v26, vcc_lo
	v_mul_f64 v[14:15], v[24:25], v[12:13]
	v_mul_f64 v[16:17], v[22:23], v[12:13]
	v_mul_f64 v[38:39], v[20:21], v[12:13]
	v_fma_f64 v[18:19], v[24:25], v[12:13], -v[14:15]
	v_fma_f64 v[48:49], v[22:23], v[12:13], -v[16:17]
	v_fma_f64 v[12:13], v[20:21], v[12:13], -v[38:39]
	v_add_f64 v[29:30], v[16:17], v[18:19]
	v_add_f64 v[32:33], v[29:30], -v[16:17]
	v_add_f64 v[36:37], v[14:15], v[29:30]
	v_add_f64 v[34:35], v[29:30], -v[32:33]
	v_add_f64 v[18:19], v[18:19], -v[32:33]
	v_ldexp_f64 v[32:33], v[36:37], -2
	v_add_f64 v[14:15], v[36:37], -v[14:15]
	v_add_f64 v[16:17], v[16:17], -v[34:35]
	v_add_f64 v[34:35], v[38:39], v[48:49]
	v_cmp_neq_f64_e64 vcc_lo, 0x7ff00000, |v[32:33]|
	v_add_f64 v[14:15], v[29:30], -v[14:15]
	v_add_f64 v[16:17], v[18:19], v[16:17]
	v_fract_f64_e32 v[18:19], v[32:33]
	v_add_f64 v[29:30], v[34:35], v[16:17]
	v_ldexp_f64 v[18:19], v[18:19], 2
	v_add_f64 v[32:33], v[14:15], v[29:30]
	v_cndmask_b32_e32 v19, 0, v19, vcc_lo
	v_cndmask_b32_e32 v18, 0, v18, vcc_lo
	v_add_f64 v[36:37], v[32:33], v[18:19]
	v_add_f64 v[14:15], v[32:33], -v[14:15]
	v_cmp_gt_f64_e32 vcc_lo, 0, v[36:37]
	v_add_f64 v[36:37], v[34:35], -v[38:39]
	v_add_f64 v[14:15], v[29:30], -v[14:15]
	v_cndmask_b32_e64 v51, 0, 0x40100000, vcc_lo
	v_add_f64 v[64:65], v[34:35], -v[36:37]
	v_add_f64 v[36:37], v[48:49], -v[36:37]
	v_add_f64 v[18:19], v[18:19], v[50:51]
	v_add_f64 v[51:52], v[29:30], -v[34:35]
	v_add_f64 v[48:49], v[38:39], -v[64:65]
	v_add_f64 v[53:54], v[32:33], v[18:19]
	;; [unrolled: 3-line block ×3, first 2 shown]
	v_cvt_i32_f64_e32 v53, v[53:54]
	v_add_f64 v[34:35], v[34:35], -v[66:67]
	v_cvt_f64_i32_e32 v[51:52], v53
	v_add_f64 v[16:17], v[16:17], v[34:35]
	v_add_f64 v[18:19], v[18:19], -v[51:52]
	v_add_f64 v[16:17], v[36:37], v[16:17]
	v_add_f64 v[34:35], v[32:33], v[18:19]
	v_add_f64 v[12:13], v[12:13], v[16:17]
	v_add_f64 v[16:17], v[34:35], -v[18:19]
	v_cmp_le_f64_e32 vcc_lo, 0.5, v[34:35]
	v_add_f64 v[12:13], v[14:15], v[12:13]
	v_add_f64 v[14:15], v[32:33], -v[16:17]
	v_cndmask_b32_e64 v51, 0, 0x3ff00000, vcc_lo
	v_add_co_ci_u32_e64 v29, null, 0, v53, vcc_lo
	v_add_f64 v[12:13], v[12:13], v[14:15]
	v_add_f64 v[14:15], v[34:35], -v[50:51]
	v_add_f64 v[16:17], v[14:15], v[12:13]
	v_mul_f64 v[18:19], v[16:17], s[10:11]
	v_add_f64 v[14:15], v[16:17], -v[14:15]
	v_fma_f64 v[32:33], v[16:17], s[10:11], -v[18:19]
	v_add_f64 v[12:13], v[12:13], -v[14:15]
	v_fma_f64 v[14:15], v[16:17], s[12:13], v[32:33]
	v_fma_f64 v[14:15], v[12:13], s[10:11], v[14:15]
	v_add_f64 v[12:13], v[18:19], v[14:15]
	v_add_f64 v[16:17], v[12:13], -v[18:19]
	v_add_f64 v[14:15], v[14:15], -v[16:17]
	s_andn2_saveexec_b32 s8, s8
	s_cbranch_execz .LBB1_27
	s_branch .LBB1_26
.LBB1_25:
	s_andn2_saveexec_b32 s8, s8
	s_cbranch_execz .LBB1_27
.LBB1_26:
	s_mov_b32 s10, 0x6dc9c883
	s_mov_b32 s11, 0x3fe45f30
	;; [unrolled: 1-line block ×3, first 2 shown]
	v_mul_f64 v[12:13], |v[8:9]|, s[10:11]
	s_mov_b32 s10, 0x54442d18
	s_mov_b32 s11, 0xbff921fb
	;; [unrolled: 1-line block ×3, first 2 shown]
	v_rndne_f64_e32 v[16:17], v[12:13]
	v_fma_f64 v[12:13], v[16:17], s[10:11], |v[8:9]|
	v_mul_f64 v[14:15], v[16:17], s[12:13]
	s_mov_b32 s10, 0x252049c0
	s_mov_b32 s11, 0xb97b839a
	v_fma_f64 v[29:30], v[16:17], s[12:13], v[12:13]
	v_add_f64 v[18:19], v[12:13], v[14:15]
	s_mov_b32 s13, 0x3c91a626
	v_add_f64 v[12:13], v[12:13], -v[18:19]
	v_add_f64 v[18:19], v[18:19], -v[29:30]
	v_add_f64 v[12:13], v[12:13], v[14:15]
	v_fma_f64 v[14:15], v[16:17], s[12:13], v[14:15]
	v_add_f64 v[12:13], v[18:19], v[12:13]
	v_add_f64 v[12:13], v[12:13], -v[14:15]
	v_fma_f64 v[14:15], v[16:17], s[10:11], v[12:13]
	v_add_f64 v[12:13], v[29:30], v[14:15]
	v_add_f64 v[18:19], v[12:13], -v[29:30]
	v_cvt_i32_f64_e32 v29, v[16:17]
	v_add_f64 v[14:15], v[14:15], -v[18:19]
.LBB1_27:
	s_or_b32 exec_lo, exec_lo, s8
                                        ; implicit-def: $vgpr30
                                        ; implicit-def: $vgpr16_vgpr17
                                        ; implicit-def: $vgpr18_vgpr19
	s_and_saveexec_b32 s8, s4
	s_xor_b32 s4, exec_lo, s8
	s_cbranch_execz .LBB1_29
; %bb.28:
	v_cmp_le_f64_e64 vcc_lo, 0x7b000000, |v[8:9]|
	v_mov_b32_e32 v48, 0
	s_mov_b32 s8, 0x54442d18
	s_mov_b32 s9, 0x3ff921fb
	;; [unrolled: 1-line block ×4, first 2 shown]
	v_cndmask_b32_e32 v17, v31, v27, vcc_lo
	v_cndmask_b32_e32 v16, v8, v26, vcc_lo
	v_mul_f64 v[18:19], v[24:25], v[16:17]
	v_mul_f64 v[26:27], v[22:23], v[16:17]
	;; [unrolled: 1-line block ×3, first 2 shown]
	v_fma_f64 v[24:25], v[24:25], v[16:17], -v[18:19]
	v_fma_f64 v[22:23], v[22:23], v[16:17], -v[26:27]
	;; [unrolled: 1-line block ×3, first 2 shown]
	v_add_f64 v[30:31], v[26:27], v[24:25]
	v_add_f64 v[32:33], v[30:31], -v[26:27]
	v_add_f64 v[36:37], v[18:19], v[30:31]
	v_add_f64 v[34:35], v[30:31], -v[32:33]
	v_add_f64 v[24:25], v[24:25], -v[32:33]
	v_ldexp_f64 v[32:33], v[36:37], -2
	v_add_f64 v[18:19], v[36:37], -v[18:19]
	v_add_f64 v[26:27], v[26:27], -v[34:35]
	v_add_f64 v[34:35], v[38:39], v[22:23]
	v_cmp_neq_f64_e64 vcc_lo, 0x7ff00000, |v[32:33]|
	v_add_f64 v[18:19], v[30:31], -v[18:19]
	v_add_f64 v[24:25], v[24:25], v[26:27]
	v_fract_f64_e32 v[26:27], v[32:33]
	v_add_f64 v[30:31], v[34:35], v[24:25]
	v_ldexp_f64 v[26:27], v[26:27], 2
	v_add_f64 v[32:33], v[18:19], v[30:31]
	v_cndmask_b32_e32 v27, 0, v27, vcc_lo
	v_cndmask_b32_e32 v26, 0, v26, vcc_lo
	v_add_f64 v[36:37], v[32:33], v[26:27]
	v_add_f64 v[18:19], v[32:33], -v[18:19]
	v_cmp_gt_f64_e32 vcc_lo, 0, v[36:37]
	v_add_f64 v[36:37], v[34:35], -v[38:39]
	v_add_f64 v[18:19], v[30:31], -v[18:19]
	v_cndmask_b32_e64 v49, 0, 0x40100000, vcc_lo
	v_add_f64 v[53:54], v[34:35], -v[36:37]
	v_add_f64 v[22:23], v[22:23], -v[36:37]
	v_add_f64 v[26:27], v[26:27], v[48:49]
	v_add_f64 v[49:50], v[30:31], -v[34:35]
	v_add_f64 v[36:37], v[38:39], -v[53:54]
	v_add_f64 v[51:52], v[32:33], v[26:27]
	;; [unrolled: 3-line block ×3, first 2 shown]
	v_cvt_i32_f64_e32 v51, v[51:52]
	v_add_f64 v[34:35], v[34:35], -v[64:65]
	v_cvt_f64_i32_e32 v[49:50], v51
	v_add_f64 v[24:25], v[24:25], v[34:35]
	v_add_f64 v[26:27], v[26:27], -v[49:50]
	v_add_f64 v[20:21], v[22:23], v[24:25]
	v_add_f64 v[22:23], v[32:33], v[26:27]
	;; [unrolled: 1-line block ×3, first 2 shown]
	v_add_f64 v[20:21], v[22:23], -v[26:27]
	v_cmp_le_f64_e32 vcc_lo, 0.5, v[22:23]
	v_add_f64 v[16:17], v[18:19], v[16:17]
	v_add_f64 v[18:19], v[32:33], -v[20:21]
	v_cndmask_b32_e64 v49, 0, 0x3ff00000, vcc_lo
	v_add_co_ci_u32_e64 v30, null, 0, v51, vcc_lo
	v_add_f64 v[16:17], v[16:17], v[18:19]
	v_add_f64 v[18:19], v[22:23], -v[48:49]
	v_add_f64 v[20:21], v[18:19], v[16:17]
	v_mul_f64 v[22:23], v[20:21], s[8:9]
	v_add_f64 v[18:19], v[20:21], -v[18:19]
	v_fma_f64 v[24:25], v[20:21], s[8:9], -v[22:23]
	v_add_f64 v[16:17], v[16:17], -v[18:19]
	v_fma_f64 v[18:19], v[20:21], s[10:11], v[24:25]
	v_fma_f64 v[18:19], v[16:17], s[8:9], v[18:19]
	v_add_f64 v[16:17], v[22:23], v[18:19]
	v_add_f64 v[20:21], v[16:17], -v[22:23]
	v_add_f64 v[18:19], v[18:19], -v[20:21]
	s_andn2_saveexec_b32 s4, s4
	s_cbranch_execnz .LBB1_30
	s_branch .LBB1_31
.LBB1_29:
	s_andn2_saveexec_b32 s4, s4
	s_cbranch_execz .LBB1_31
.LBB1_30:
	s_mov_b32 s8, 0x6dc9c883
	s_mov_b32 s9, 0x3fe45f30
	;; [unrolled: 1-line block ×3, first 2 shown]
	v_mul_f64 v[16:17], |v[8:9]|, s[8:9]
	s_mov_b32 s8, 0x54442d18
	s_mov_b32 s9, 0xbff921fb
	;; [unrolled: 1-line block ×3, first 2 shown]
	v_rndne_f64_e32 v[20:21], v[16:17]
	v_fma_f64 v[16:17], v[20:21], s[8:9], |v[8:9]|
	v_mul_f64 v[18:19], v[20:21], s[10:11]
	s_mov_b32 s8, 0x252049c0
	s_mov_b32 s9, 0xb97b839a
	v_cvt_i32_f64_e32 v30, v[20:21]
	v_fma_f64 v[24:25], v[20:21], s[10:11], v[16:17]
	v_add_f64 v[22:23], v[16:17], v[18:19]
	s_mov_b32 s11, 0x3c91a626
	v_add_f64 v[16:17], v[16:17], -v[22:23]
	v_add_f64 v[22:23], v[22:23], -v[24:25]
	v_add_f64 v[16:17], v[16:17], v[18:19]
	v_fma_f64 v[18:19], v[20:21], s[10:11], v[18:19]
	v_add_f64 v[16:17], v[22:23], v[16:17]
	v_add_f64 v[16:17], v[16:17], -v[18:19]
	v_fma_f64 v[18:19], v[20:21], s[8:9], v[16:17]
	v_add_f64 v[16:17], v[24:25], v[18:19]
	v_add_f64 v[22:23], v[16:17], -v[24:25]
	v_add_f64 v[18:19], v[18:19], -v[22:23]
.LBB1_31:
	s_or_b32 exec_lo, exec_lo, s4
	v_div_scale_f64 v[20:21], null, v[10:11], v[10:11], 0x40140000
	s_mov_b32 s8, 0x4c6c651b
	s_mov_b32 s9, 0x3f48f92c
	;; [unrolled: 1-line block ×20, first 2 shown]
	v_rcp_f64_e32 v[22:23], v[20:21]
	s_mov_b32 s28, 0x11110bb3
	s_mov_b32 s29, 0x3f811111
	;; [unrolled: 1-line block ×4, first 2 shown]
	v_cmp_class_f64_e64 s4, v[8:9], 0x1f8
	v_fma_f64 v[24:25], -v[20:21], v[22:23], 1.0
	v_fma_f64 v[22:23], v[22:23], v[24:25], v[22:23]
	v_fma_f64 v[24:25], -v[20:21], v[22:23], 1.0
	v_fma_f64 v[22:23], v[22:23], v[24:25], v[22:23]
	v_div_scale_f64 v[24:25], vcc_lo, 0x40140000, v[10:11], 0x40140000
	v_mul_f64 v[26:27], v[24:25], v[22:23]
	v_fma_f64 v[20:21], -v[20:21], v[26:27], v[24:25]
	v_div_fmas_f64 v[20:21], v[20:21], v[22:23], v[26:27]
	v_div_fixup_f64 v[20:21], v[20:21], v[10:11], 0x40140000
	v_mul_f64 v[22:23], v[20:21], v[20:21]
	v_fma_f64 v[24:25], v[22:23], 0, s[8:9]
	s_mov_b32 s8, 0xa3fec4b6
	s_mov_b32 s9, 0x3fb2b948
	v_fma_f64 v[24:25], v[22:23], v[24:25], s[8:9]
	s_mov_b32 s8, 0xc21596d6
	s_mov_b32 s9, 0x3ff208fe
	;; [unrolled: 3-line block ×13, first 2 shown]
	v_fma_f64 v[26:27], v[22:23], v[26:27], 1.0
	v_fma_f64 v[31:32], v[22:23], v[31:32], s[8:9]
	s_mov_b32 s8, 0x9acf1c67
	s_mov_b32 s9, 0x4052f4b9
	v_fma_f64 v[31:32], v[22:23], v[31:32], s[8:9]
	s_mov_b32 s8, 0x47aa180d
	s_mov_b32 s9, 0x4076ec79
	;; [unrolled: 3-line block ×13, first 2 shown]
	v_fma_f64 v[33:34], v[22:23], v[33:34], s[8:9]
	v_fma_f64 v[22:23], v[22:23], v[24:25], 1.0
	s_mov_b32 s8, 0x9037ab78
	s_mov_b32 s9, 0x3e21eeb6
	v_div_scale_f64 v[24:25], null, v[26:27], v[26:27], v[22:23]
	v_rcp_f64_e32 v[35:36], v[24:25]
	v_fma_f64 v[37:38], -v[24:25], v[35:36], 1.0
	v_fma_f64 v[35:36], v[35:36], v[37:38], v[35:36]
	v_fma_f64 v[37:38], -v[24:25], v[35:36], 1.0
	v_fma_f64 v[35:36], v[35:36], v[37:38], v[35:36]
	v_div_scale_f64 v[37:38], vcc_lo, v[22:23], v[26:27], v[22:23]
	v_mul_f64 v[48:49], v[37:38], v[35:36]
	v_fma_f64 v[24:25], -v[24:25], v[48:49], v[37:38]
	v_div_fmas_f64 v[24:25], v[24:25], v[35:36], v[48:49]
	v_div_fixup_f64 v[22:23], v[24:25], v[26:27], v[22:23]
	v_mul_f64 v[24:25], v[12:13], v[12:13]
	v_mul_f64 v[26:27], v[24:25], 0.5
	v_fma_f64 v[48:49], v[24:25], s[10:11], s[8:9]
	v_add_f64 v[35:36], -v[26:27], 1.0
	v_fma_f64 v[48:49], v[24:25], v[48:49], s[12:13]
	v_add_f64 v[37:38], -v[35:36], 1.0
	v_fma_f64 v[48:49], v[24:25], v[48:49], s[18:19]
	v_add_f64 v[26:27], v[37:38], -v[26:27]
	v_fma_f64 v[48:49], v[24:25], v[48:49], s[20:21]
	v_mul_f64 v[37:38], v[24:25], v[24:25]
	v_fma_f64 v[26:27], v[12:13], -v[14:15], v[26:27]
	v_fma_f64 v[48:49], v[24:25], v[48:49], s[22:23]
	v_fma_f64 v[26:27], v[37:38], v[48:49], v[26:27]
	v_mul_f64 v[37:38], v[12:13], -v[24:25]
	v_mul_f64 v[48:49], v[14:15], 0.5
	v_add_f64 v[26:27], v[35:36], v[26:27]
	v_fma_f64 v[35:36], v[24:25], s[16:17], s[14:15]
	v_fma_f64 v[35:36], v[24:25], v[35:36], s[24:25]
	;; [unrolled: 1-line block ×5, first 2 shown]
	v_fma_f64 v[14:15], v[24:25], v[35:36], -v[14:15]
	v_fma_f64 v[14:15], v[37:38], s[40:41], v[14:15]
	v_add_f64 v[12:13], v[12:13], -v[14:15]
	v_and_b32_e32 v14, 1, v29
	v_cmp_eq_u32_e32 vcc_lo, 0, v14
	v_lshlrev_b32_e32 v14, 30, v29
	v_xor_b32_e32 v14, v14, v9
	v_and_b32_e32 v14, 0x80000000, v14
	v_cndmask_b32_e32 v13, v27, v13, vcc_lo
	v_cndmask_b32_e32 v12, v26, v12, vcc_lo
	v_xor_b32_e32 v13, v13, v14
	v_cndmask_b32_e64 v8, 0, v12, s4
	v_cndmask_b32_e64 v9, 0x7ff80000, v13, s4
	v_div_scale_f64 v[12:13], null, v[33:34], v[33:34], v[31:32]
	v_rcp_f64_e32 v[14:15], v[12:13]
	v_fma_f64 v[24:25], -v[12:13], v[14:15], 1.0
	v_fma_f64 v[14:15], v[14:15], v[24:25], v[14:15]
	v_fma_f64 v[24:25], -v[12:13], v[14:15], 1.0
	v_fma_f64 v[14:15], v[14:15], v[24:25], v[14:15]
	v_div_scale_f64 v[24:25], vcc_lo, v[31:32], v[33:34], v[31:32]
	v_mul_f64 v[26:27], v[24:25], v[14:15]
	v_fma_f64 v[12:13], -v[12:13], v[26:27], v[24:25]
	v_div_fmas_f64 v[12:13], v[12:13], v[14:15], v[26:27]
	v_mul_f64 v[14:15], v[16:17], v[16:17]
	v_div_fixup_f64 v[12:13], v[12:13], v[33:34], v[31:32]
	v_fma_f64 v[31:32], v[14:15], s[10:11], s[8:9]
	s_mov_b32 s8, 0x33d43651
	s_mov_b32 s9, 0x3fe98845
	v_mul_f64 v[12:13], v[20:21], v[12:13]
	v_mul_f64 v[20:21], v[14:15], 0.5
	v_fma_f64 v[31:32], v[14:15], v[31:32], s[12:13]
	v_add_f64 v[24:25], -v[20:21], 1.0
	v_fma_f64 v[31:32], v[14:15], v[31:32], s[18:19]
	v_add_f64 v[26:27], -v[24:25], 1.0
	v_fma_f64 v[31:32], v[14:15], v[31:32], s[20:21]
	v_add_f64 v[20:21], v[26:27], -v[20:21]
	v_mul_f64 v[26:27], v[14:15], v[14:15]
	v_fma_f64 v[31:32], v[14:15], v[31:32], s[22:23]
	v_fma_f64 v[20:21], v[16:17], -v[18:19], v[20:21]
	v_fma_f64 v[20:21], v[26:27], v[31:32], v[20:21]
	v_mul_f64 v[26:27], v[16:17], -v[14:15]
	v_mul_f64 v[31:32], v[18:19], 0.5
	v_add_f64 v[20:21], v[24:25], v[20:21]
	v_fma_f64 v[24:25], v[14:15], s[16:17], s[14:15]
	v_fma_f64 v[24:25], v[14:15], v[24:25], s[24:25]
	;; [unrolled: 1-line block ×5, first 2 shown]
	v_fma_f64 v[14:15], v[14:15], v[24:25], -v[18:19]
	v_fma_f64 v[14:15], v[26:27], s[40:41], v[14:15]
	v_add_f64 v[14:15], v[16:17], -v[14:15]
	v_and_b32_e32 v16, 1, v30
	v_cmp_eq_u32_e32 vcc_lo, 0, v16
	v_lshlrev_b32_e32 v16, 30, v30
	v_and_b32_e32 v16, 0x80000000, v16
	v_xor_b32_e32 v15, 0x80000000, v15
	v_cndmask_b32_e32 v14, v14, v20, vcc_lo
	v_cndmask_b32_e32 v15, v15, v21, vcc_lo
	v_cndmask_b32_e64 v14, 0, v14, s4
	v_cmp_gt_f64_e32 vcc_lo, 0x10000000, v[10:11]
	v_xor_b32_e32 v15, v15, v16
	v_cndmask_b32_e64 v15, 0x7ff80000, v15, s4
	v_mul_f64 v[12:13], v[12:13], v[14:15]
	v_fma_f64 v[8:9], v[22:23], v[8:9], v[12:13]
	v_cndmask_b32_e64 v12, 0, 0x100, vcc_lo
	v_ldexp_f64 v[10:11], v[10:11], v12
	v_mul_f64 v[8:9], v[8:9], s[8:9]
	v_rsq_f64_e32 v[12:13], v[10:11]
	v_mul_f64 v[14:15], v[10:11], v[12:13]
	v_mul_f64 v[12:13], v[12:13], 0.5
	v_fma_f64 v[16:17], -v[12:13], v[14:15], 0.5
	v_fma_f64 v[14:15], v[14:15], v[16:17], v[14:15]
	v_fma_f64 v[12:13], v[12:13], v[16:17], v[12:13]
	v_fma_f64 v[18:19], -v[14:15], v[14:15], v[10:11]
	v_fma_f64 v[14:15], v[18:19], v[12:13], v[14:15]
	v_fma_f64 v[16:17], -v[14:15], v[14:15], v[10:11]
	v_fma_f64 v[12:13], v[16:17], v[12:13], v[14:15]
	v_cndmask_b32_e64 v14, 0, 0xffffff80, vcc_lo
	v_cmp_class_f64_e64 vcc_lo, v[10:11], 0x260
	v_ldexp_f64 v[12:13], v[12:13], v14
	v_cndmask_b32_e32 v11, v13, v11, vcc_lo
	v_cndmask_b32_e32 v10, v12, v10, vcc_lo
	v_div_scale_f64 v[12:13], null, v[10:11], v[10:11], v[8:9]
	v_rcp_f64_e32 v[14:15], v[12:13]
	v_fma_f64 v[16:17], -v[12:13], v[14:15], 1.0
	v_fma_f64 v[14:15], v[14:15], v[16:17], v[14:15]
	v_fma_f64 v[16:17], -v[12:13], v[14:15], 1.0
	v_fma_f64 v[14:15], v[14:15], v[16:17], v[14:15]
	v_div_scale_f64 v[16:17], vcc_lo, v[8:9], v[10:11], v[8:9]
	v_mul_f64 v[18:19], v[16:17], v[14:15]
	v_fma_f64 v[12:13], -v[12:13], v[18:19], v[16:17]
	v_div_fmas_f64 v[12:13], v[12:13], v[14:15], v[18:19]
	v_div_fixup_f64 v[8:9], v[12:13], v[10:11], v[8:9]
.LBB1_32:
	s_or_b32 exec_lo, exec_lo, s5
                                        ; implicit-def: $vgpr10_vgpr11
	s_mov_b32 s4, exec_lo
	s_waitcnt vmcnt(0) lgkmcnt(0)
	v_cmpx_ge_f64_e32 0x40140000, v[2:3]
	s_xor_b32 s8, exec_lo, s4
	s_cbranch_execz .LBB1_38
; %bb.33:
	v_mov_b32_e32 v10, 0
	v_mov_b32_e32 v11, 0xfff00000
	s_mov_b32 s9, exec_lo
	v_cmpx_neq_f64_e32 0, v[2:3]
	s_cbranch_execz .LBB1_37
; %bb.34:
	v_mov_b32_e32 v10, 0
	v_mov_b32_e32 v11, 0x7ff80000
	s_mov_b32 s10, exec_lo
	v_cmpx_nge_f64_e32 0, v[2:3]
	s_cbranch_execz .LBB1_36
; %bb.35:
	v_frexp_mant_f64_e32 v[10:11], v[2:3]
	s_mov_b32 s5, 0x3fe55555
	s_mov_b32 s4, 0x55555555
	;; [unrolled: 1-line block ×8, first 2 shown]
	v_frexp_exp_i32_f64_e32 v33, v[2:3]
	s_mov_b32 s18, 0xfefa39ef
	s_mov_b32 s19, 0x3fe62e42
	v_cmp_gt_f64_e32 vcc_lo, s[4:5], v[10:11]
	s_mov_b32 s4, 0x55555780
	v_cndmask_b32_e64 v12, 0, 1, vcc_lo
	v_ldexp_f64 v[10:11], v[10:11], v12
	v_add_f64 v[12:13], v[10:11], 1.0
	v_add_f64 v[18:19], v[10:11], -1.0
	v_rcp_f64_e32 v[14:15], v[12:13]
	v_add_f64 v[20:21], v[12:13], -1.0
	v_add_f64 v[10:11], v[10:11], -v[20:21]
	v_fma_f64 v[16:17], -v[12:13], v[14:15], 1.0
	v_fma_f64 v[14:15], v[16:17], v[14:15], v[14:15]
	v_fma_f64 v[16:17], -v[12:13], v[14:15], 1.0
	v_fma_f64 v[14:15], v[16:17], v[14:15], v[14:15]
	v_mul_f64 v[16:17], v[18:19], v[14:15]
	v_mul_f64 v[22:23], v[12:13], v[16:17]
	v_fma_f64 v[12:13], v[16:17], v[12:13], -v[22:23]
	v_fma_f64 v[10:11], v[16:17], v[10:11], v[12:13]
	v_add_f64 v[12:13], v[22:23], v[10:11]
	v_add_f64 v[20:21], v[18:19], -v[12:13]
	v_add_f64 v[22:23], v[12:13], -v[22:23]
	;; [unrolled: 1-line block ×5, first 2 shown]
	v_add_f64 v[10:11], v[10:11], v[12:13]
	v_add_f64 v[10:11], v[20:21], v[10:11]
	v_mul_f64 v[20:21], v[2:3], v[2:3]
	v_mul_f64 v[10:11], v[14:15], v[10:11]
	v_add_f64 v[12:13], v[16:17], v[10:11]
	v_mul_f64 v[14:15], v[12:13], v[12:13]
	v_ldexp_f64 v[31:32], v[12:13], 1
	v_fma_f64 v[18:19], v[14:15], s[14:15], s[12:13]
	s_mov_b32 s12, 0xd7f4df2e
	s_mov_b32 s13, 0x3fc7474d
	s_mov_b32 s14, 0x1b7086e7
	s_mov_b32 s15, 0x408366b1
	v_mul_f64 v[29:30], v[12:13], v[14:15]
	v_fma_f64 v[24:25], v[20:21], 0, s[14:15]
	s_mov_b32 s14, 0xdd701b2
	s_mov_b32 s15, 0x410f5eda
	v_add_f64 v[12:13], v[12:13], -v[16:17]
	v_fma_f64 v[18:19], v[14:15], v[18:19], s[12:13]
	s_mov_b32 s12, 0xa93f7ac2
	s_mov_b32 s13, 0x40829269
	v_fma_f64 v[22:23], v[20:21], 0, s[12:13]
	s_mov_b32 s12, 0x16291751
	s_mov_b32 s13, 0x3fcc71c0
	;; [unrolled: 3-line block ×3, first 2 shown]
	v_add_f64 v[10:11], v[10:11], -v[12:13]
	v_fma_f64 v[18:19], v[14:15], v[18:19], s[12:13]
	s_mov_b32 s12, 0xbe58ef7f
	s_mov_b32 s13, 0x410cc160
	v_fma_f64 v[22:23], v[20:21], v[22:23], s[12:13]
	s_mov_b32 s12, 0x9b27acf1
	s_mov_b32 s13, 0x3fd24924
	;; [unrolled: 3-line block ×3, first 2 shown]
	v_ldexp_f64 v[10:11], v[10:11], 1
	v_fma_f64 v[18:19], v[14:15], v[18:19], s[12:13]
	s_mov_b32 s12, 0x62f9b6c5
	s_mov_b32 s13, 0x41d2d2be
	v_fma_f64 v[26:27], v[20:21], 0, s[12:13]
	v_fma_f64 v[22:23], v[20:21], v[22:23], s[14:15]
	s_mov_b32 s12, 0x998ef7b6
	s_mov_b32 s13, 0x3fd99999
	;; [unrolled: 1-line block ×4, first 2 shown]
	v_fma_f64 v[24:25], v[20:21], v[24:25], s[16:17]
	s_mov_b32 s16, 0x8076ffa8
	s_mov_b32 s17, 0x429146fb
	v_fma_f64 v[18:19], v[14:15], v[18:19], s[12:13]
	s_mov_b32 s12, 0x58836521
	s_mov_b32 s13, 0xc262d72d
	v_fma_f64 v[26:27], v[20:21], v[26:27], s[12:13]
	v_fma_f64 v[22:23], v[20:21], v[22:23], s[14:15]
	s_mov_b32 s12, 0xfda99316
	s_mov_b32 s14, 0x4cda4fc5
	;; [unrolled: 1-line block ×4, first 2 shown]
	v_fma_f64 v[24:25], v[20:21], v[24:25], s[16:17]
	s_mov_b32 s16, 0x3eccf45f
	s_mov_b32 s17, 0x43064b0a
	v_fma_f64 v[14:15], v[14:15], v[18:19], s[4:5]
	s_mov_b32 s4, 0xb0910fef
	s_mov_b32 s5, 0x42da0954
	v_fma_f64 v[18:19], v[20:21], v[26:27], s[4:5]
	v_fma_f64 v[22:23], v[20:21], v[22:23], s[12:13]
	;; [unrolled: 1-line block ×3, first 2 shown]
	s_mov_b32 s4, 0x37a1b083
	s_mov_b32 s12, 0xd71d1e4e
	;; [unrolled: 1-line block ×6, first 2 shown]
	v_fma_f64 v[24:25], v[20:21], v[24:25], s[16:17]
	s_mov_b32 s16, 0xf4653f81
	s_mov_b32 s17, 0x4373e0bf
	v_mul_f64 v[14:15], v[29:30], v[14:15]
	v_subrev_co_ci_u32_e64 v29, null, 0, v33, vcc_lo
	v_fma_f64 v[18:19], v[20:21], v[18:19], s[4:5]
	v_fma_f64 v[22:23], v[20:21], v[22:23], s[12:13]
	;; [unrolled: 1-line block ×3, first 2 shown]
	v_cvt_f64_i32_e32 v[29:30], v29
	s_mov_b32 s4, 0xb7366b1
	s_mov_b32 s12, 0xc547a488
	;; [unrolled: 1-line block ×6, first 2 shown]
	v_fma_f64 v[24:25], v[20:21], v[24:25], s[16:17]
	s_mov_b32 s16, 0xa697c482
	s_mov_b32 s17, 0x432a2b42
	v_add_f64 v[16:17], v[31:32], v[14:15]
	v_fma_f64 v[18:19], v[20:21], v[18:19], s[4:5]
	v_fma_f64 v[22:23], v[20:21], v[22:23], s[12:13]
	;; [unrolled: 1-line block ×3, first 2 shown]
	v_mul_f64 v[33:34], v[29:30], s[18:19]
	s_mov_b32 s4, 0x90f6747f
	s_mov_b32 s12, 0x5dde2b17
	;; [unrolled: 1-line block ×6, first 2 shown]
	v_add_f64 v[12:13], v[16:17], -v[31:32]
	v_fma_f64 v[18:19], v[20:21], v[18:19], s[12:13]
	v_fma_f64 v[22:23], v[20:21], v[22:23], s[4:5]
	;; [unrolled: 1-line block ×4, first 2 shown]
	v_fma_f64 v[24:25], v[29:30], s[18:19], -v[33:34]
	s_mov_b32 s4, 0x3b39803f
	s_mov_b32 s5, 0x3c7abc9e
	v_add_f64 v[12:13], v[14:15], -v[12:13]
	v_div_scale_f64 v[14:15], null, v[22:23], v[22:23], v[18:19]
	v_div_scale_f64 v[31:32], null, v[20:21], v[20:21], v[26:27]
	v_fma_f64 v[24:25], v[29:30], s[4:5], v[24:25]
	v_add_f64 v[10:11], v[10:11], v[12:13]
	v_rcp_f64_e32 v[12:13], v[14:15]
	v_rcp_f64_e32 v[29:30], v[31:32]
	v_add_f64 v[35:36], v[33:34], v[24:25]
	v_add_f64 v[37:38], v[16:17], v[10:11]
	v_fma_f64 v[48:49], -v[14:15], v[12:13], 1.0
	v_fma_f64 v[50:51], -v[31:32], v[29:30], 1.0
	v_add_f64 v[33:34], v[35:36], -v[33:34]
	v_add_f64 v[52:53], v[35:36], v[37:38]
	v_add_f64 v[16:17], v[37:38], -v[16:17]
	v_fma_f64 v[12:13], v[12:13], v[48:49], v[12:13]
	v_fma_f64 v[29:30], v[29:30], v[50:51], v[29:30]
	v_div_scale_f64 v[50:51], null, v[2:3], v[2:3], -1.0
	v_add_f64 v[24:25], v[24:25], -v[33:34]
	v_div_scale_f64 v[33:34], vcc_lo, v[18:19], v[22:23], v[18:19]
	v_add_f64 v[48:49], v[52:53], -v[35:36]
	v_add_f64 v[10:11], v[10:11], -v[16:17]
	v_fma_f64 v[54:55], -v[14:15], v[12:13], 1.0
	v_fma_f64 v[64:65], -v[31:32], v[29:30], 1.0
	v_rcp_f64_e32 v[68:69], v[50:51]
	v_add_f64 v[66:67], v[52:53], -v[48:49]
	v_add_f64 v[16:17], v[37:38], -v[48:49]
	v_fma_f64 v[12:13], v[12:13], v[54:55], v[12:13]
	v_div_scale_f64 v[54:55], s4, v[26:27], v[20:21], v[26:27]
	v_fma_f64 v[29:30], v[29:30], v[64:65], v[29:30]
	v_fma_f64 v[37:38], -v[50:51], v[68:69], 1.0
	v_add_f64 v[35:36], v[35:36], -v[66:67]
	v_add_f64 v[66:67], v[24:25], v[10:11]
	v_mul_f64 v[48:49], v[33:34], v[12:13]
	v_mul_f64 v[64:65], v[54:55], v[29:30]
	v_add_f64 v[16:17], v[16:17], v[35:36]
	v_fma_f64 v[35:36], v[68:69], v[37:38], v[68:69]
	v_fma_f64 v[14:15], -v[14:15], v[48:49], v[33:34]
	v_add_f64 v[33:34], v[66:67], -v[24:25]
	v_fma_f64 v[31:32], -v[31:32], v[64:65], v[54:55]
	v_add_f64 v[16:17], v[66:67], v[16:17]
	v_fma_f64 v[37:38], -v[50:51], v[35:36], 1.0
	v_div_fmas_f64 v[12:13], v[14:15], v[12:13], v[48:49]
	s_mov_b32 vcc_lo, s4
	v_add_f64 v[10:11], v[10:11], -v[33:34]
	v_div_fmas_f64 v[14:15], v[31:32], v[29:30], v[64:65]
	v_add_f64 v[29:30], v[66:67], -v[33:34]
	v_div_scale_f64 v[48:49], vcc_lo, -1.0, v[2:3], -1.0
	s_mov_b32 s4, 0x4189822c
	s_mov_b32 s5, 0xc02d5d2b
	v_add_f64 v[31:32], v[52:53], v[16:17]
	v_fma_f64 v[35:36], v[35:36], v[37:38], v[35:36]
	v_div_fixup_f64 v[12:13], v[12:13], v[22:23], v[18:19]
	v_div_fixup_f64 v[14:15], v[14:15], v[20:21], v[26:27]
	v_add_f64 v[20:21], v[24:25], -v[29:30]
	v_fma_f64 v[29:30], v[2:3], v[2:3], s[4:5]
	s_mov_b32 s4, 0x6072a432
	s_mov_b32 s5, 0xc0489bf6
	v_add_f64 v[24:25], v[31:32], -v[52:53]
	v_mul_f64 v[26:27], v[48:49], v[35:36]
	v_mul_f64 v[14:15], v[2:3], v[14:15]
	v_add_f64 v[10:11], v[10:11], v[20:21]
	v_add_f64 v[16:17], v[16:17], -v[24:25]
	v_fma_f64 v[20:21], -v[50:51], v[26:27], v[48:49]
	v_fma_f64 v[24:25], v[2:3], v[2:3], s[4:5]
	s_mov_b32 s4, 0x6dc9c883
	s_mov_b32 s5, 0x3fe45f30
	v_mul_f64 v[14:15], v[29:30], v[14:15]
	v_add_f64 v[10:11], v[10:11], v[16:17]
	v_div_fmas_f64 v[16:17], v[20:21], v[35:36], v[26:27]
	v_mul_f64 v[14:15], v[24:25], v[14:15]
	v_add_f64 v[10:11], v[31:32], v[10:11]
	v_div_fixup_f64 v[16:17], v[16:17], v[2:3], -1.0
	v_fma_f64 v[10:11], v[14:15], v[10:11], v[16:17]
	v_mul_f64 v[10:11], v[10:11], s[4:5]
	v_fma_f64 v[10:11], v[2:3], v[12:13], v[10:11]
.LBB1_36:
	s_or_b32 exec_lo, exec_lo, s10
.LBB1_37:
	s_or_b32 exec_lo, exec_lo, s9
.LBB1_38:
	s_andn2_saveexec_b32 s5, s8
	s_cbranch_execz .LBB1_48
; %bb.39:
	s_mov_b32 s8, 0x7f3321d2
	s_mov_b32 s9, 0xc002d97c
                                        ; implicit-def: $vgpr29
                                        ; implicit-def: $vgpr12_vgpr13
                                        ; implicit-def: $vgpr14_vgpr15
	v_add_f64 v[10:11], v[2:3], s[8:9]
	v_cmp_ngt_f64_e64 s4, 0x41d00000, |v[10:11]|
	v_trig_preop_f64 v[24:25], |v[10:11]|, 0
	v_trig_preop_f64 v[22:23], |v[10:11]|, 1
	v_ldexp_f64 v[26:27], |v[10:11]|, 0xffffff80
	v_trig_preop_f64 v[20:21], |v[10:11]|, 2
	v_and_b32_e32 v31, 0x7fffffff, v11
	s_and_saveexec_b32 s8, s4
	s_xor_b32 s8, exec_lo, s8
	s_cbranch_execz .LBB1_41
; %bb.40:
	v_cmp_le_f64_e64 vcc_lo, 0x7b000000, |v[10:11]|
	v_mov_b32_e32 v50, 0
	s_mov_b32 s10, 0x54442d18
	s_mov_b32 s11, 0x3ff921fb
	;; [unrolled: 1-line block ×4, first 2 shown]
	v_cndmask_b32_e32 v13, v31, v27, vcc_lo
	v_cndmask_b32_e32 v12, v10, v26, vcc_lo
	v_mul_f64 v[14:15], v[24:25], v[12:13]
	v_mul_f64 v[16:17], v[22:23], v[12:13]
	;; [unrolled: 1-line block ×3, first 2 shown]
	v_fma_f64 v[18:19], v[24:25], v[12:13], -v[14:15]
	v_fma_f64 v[48:49], v[22:23], v[12:13], -v[16:17]
	;; [unrolled: 1-line block ×3, first 2 shown]
	v_add_f64 v[29:30], v[16:17], v[18:19]
	v_add_f64 v[32:33], v[29:30], -v[16:17]
	v_add_f64 v[36:37], v[14:15], v[29:30]
	v_add_f64 v[34:35], v[29:30], -v[32:33]
	v_add_f64 v[18:19], v[18:19], -v[32:33]
	v_ldexp_f64 v[32:33], v[36:37], -2
	v_add_f64 v[14:15], v[36:37], -v[14:15]
	v_add_f64 v[16:17], v[16:17], -v[34:35]
	v_add_f64 v[34:35], v[38:39], v[48:49]
	v_cmp_neq_f64_e64 vcc_lo, 0x7ff00000, |v[32:33]|
	v_add_f64 v[14:15], v[29:30], -v[14:15]
	v_add_f64 v[16:17], v[18:19], v[16:17]
	v_fract_f64_e32 v[18:19], v[32:33]
	v_add_f64 v[29:30], v[34:35], v[16:17]
	v_ldexp_f64 v[18:19], v[18:19], 2
	v_add_f64 v[32:33], v[14:15], v[29:30]
	v_cndmask_b32_e32 v19, 0, v19, vcc_lo
	v_cndmask_b32_e32 v18, 0, v18, vcc_lo
	v_add_f64 v[36:37], v[32:33], v[18:19]
	v_add_f64 v[14:15], v[32:33], -v[14:15]
	v_cmp_gt_f64_e32 vcc_lo, 0, v[36:37]
	v_add_f64 v[36:37], v[34:35], -v[38:39]
	v_add_f64 v[14:15], v[29:30], -v[14:15]
	v_cndmask_b32_e64 v51, 0, 0x40100000, vcc_lo
	v_add_f64 v[64:65], v[34:35], -v[36:37]
	v_add_f64 v[36:37], v[48:49], -v[36:37]
	v_add_f64 v[18:19], v[18:19], v[50:51]
	v_add_f64 v[51:52], v[29:30], -v[34:35]
	v_add_f64 v[48:49], v[38:39], -v[64:65]
	v_add_f64 v[53:54], v[32:33], v[18:19]
	v_add_f64 v[66:67], v[29:30], -v[51:52]
	v_add_f64 v[16:17], v[16:17], -v[51:52]
	v_add_f64 v[36:37], v[36:37], v[48:49]
	v_cvt_i32_f64_e32 v53, v[53:54]
	v_add_f64 v[34:35], v[34:35], -v[66:67]
	v_cvt_f64_i32_e32 v[51:52], v53
	v_add_f64 v[16:17], v[16:17], v[34:35]
	v_add_f64 v[18:19], v[18:19], -v[51:52]
	v_add_f64 v[16:17], v[36:37], v[16:17]
	v_add_f64 v[34:35], v[32:33], v[18:19]
	v_add_f64 v[12:13], v[12:13], v[16:17]
	v_add_f64 v[16:17], v[34:35], -v[18:19]
	v_cmp_le_f64_e32 vcc_lo, 0.5, v[34:35]
	v_add_f64 v[12:13], v[14:15], v[12:13]
	v_add_f64 v[14:15], v[32:33], -v[16:17]
	v_cndmask_b32_e64 v51, 0, 0x3ff00000, vcc_lo
	v_add_co_ci_u32_e64 v29, null, 0, v53, vcc_lo
	v_add_f64 v[12:13], v[12:13], v[14:15]
	v_add_f64 v[14:15], v[34:35], -v[50:51]
	v_add_f64 v[16:17], v[14:15], v[12:13]
	v_mul_f64 v[18:19], v[16:17], s[10:11]
	v_add_f64 v[14:15], v[16:17], -v[14:15]
	v_fma_f64 v[32:33], v[16:17], s[10:11], -v[18:19]
	v_add_f64 v[12:13], v[12:13], -v[14:15]
	v_fma_f64 v[14:15], v[16:17], s[12:13], v[32:33]
	v_fma_f64 v[14:15], v[12:13], s[10:11], v[14:15]
	v_add_f64 v[12:13], v[18:19], v[14:15]
	v_add_f64 v[16:17], v[12:13], -v[18:19]
	v_add_f64 v[14:15], v[14:15], -v[16:17]
	s_andn2_saveexec_b32 s8, s8
	s_cbranch_execz .LBB1_43
	s_branch .LBB1_42
.LBB1_41:
	s_andn2_saveexec_b32 s8, s8
	s_cbranch_execz .LBB1_43
.LBB1_42:
	s_mov_b32 s10, 0x6dc9c883
	s_mov_b32 s11, 0x3fe45f30
	;; [unrolled: 1-line block ×3, first 2 shown]
	v_mul_f64 v[12:13], |v[10:11]|, s[10:11]
	s_mov_b32 s10, 0x54442d18
	s_mov_b32 s11, 0xbff921fb
	;; [unrolled: 1-line block ×3, first 2 shown]
	v_rndne_f64_e32 v[16:17], v[12:13]
	v_fma_f64 v[12:13], v[16:17], s[10:11], |v[10:11]|
	v_mul_f64 v[14:15], v[16:17], s[12:13]
	s_mov_b32 s10, 0x252049c0
	s_mov_b32 s11, 0xb97b839a
	v_fma_f64 v[29:30], v[16:17], s[12:13], v[12:13]
	v_add_f64 v[18:19], v[12:13], v[14:15]
	s_mov_b32 s13, 0x3c91a626
	v_add_f64 v[12:13], v[12:13], -v[18:19]
	v_add_f64 v[18:19], v[18:19], -v[29:30]
	v_add_f64 v[12:13], v[12:13], v[14:15]
	v_fma_f64 v[14:15], v[16:17], s[12:13], v[14:15]
	v_add_f64 v[12:13], v[18:19], v[12:13]
	v_add_f64 v[12:13], v[12:13], -v[14:15]
	v_fma_f64 v[14:15], v[16:17], s[10:11], v[12:13]
	v_add_f64 v[12:13], v[29:30], v[14:15]
	v_add_f64 v[18:19], v[12:13], -v[29:30]
	v_cvt_i32_f64_e32 v29, v[16:17]
	v_add_f64 v[14:15], v[14:15], -v[18:19]
.LBB1_43:
	s_or_b32 exec_lo, exec_lo, s8
                                        ; implicit-def: $vgpr30
                                        ; implicit-def: $vgpr16_vgpr17
                                        ; implicit-def: $vgpr18_vgpr19
	s_and_saveexec_b32 s8, s4
	s_xor_b32 s4, exec_lo, s8
	s_cbranch_execz .LBB1_45
; %bb.44:
	v_cmp_le_f64_e64 vcc_lo, 0x7b000000, |v[10:11]|
	v_mov_b32_e32 v48, 0
	s_mov_b32 s8, 0x54442d18
	s_mov_b32 s9, 0x3ff921fb
	;; [unrolled: 1-line block ×4, first 2 shown]
	v_cndmask_b32_e32 v17, v31, v27, vcc_lo
	v_cndmask_b32_e32 v16, v10, v26, vcc_lo
	v_mul_f64 v[18:19], v[24:25], v[16:17]
	v_mul_f64 v[26:27], v[22:23], v[16:17]
	;; [unrolled: 1-line block ×3, first 2 shown]
	v_fma_f64 v[24:25], v[24:25], v[16:17], -v[18:19]
	v_fma_f64 v[22:23], v[22:23], v[16:17], -v[26:27]
	;; [unrolled: 1-line block ×3, first 2 shown]
	v_add_f64 v[30:31], v[26:27], v[24:25]
	v_add_f64 v[32:33], v[30:31], -v[26:27]
	v_add_f64 v[36:37], v[18:19], v[30:31]
	v_add_f64 v[34:35], v[30:31], -v[32:33]
	v_add_f64 v[24:25], v[24:25], -v[32:33]
	v_ldexp_f64 v[32:33], v[36:37], -2
	v_add_f64 v[18:19], v[36:37], -v[18:19]
	v_add_f64 v[26:27], v[26:27], -v[34:35]
	v_add_f64 v[34:35], v[38:39], v[22:23]
	v_cmp_neq_f64_e64 vcc_lo, 0x7ff00000, |v[32:33]|
	v_add_f64 v[18:19], v[30:31], -v[18:19]
	v_add_f64 v[24:25], v[24:25], v[26:27]
	v_fract_f64_e32 v[26:27], v[32:33]
	v_add_f64 v[30:31], v[34:35], v[24:25]
	v_ldexp_f64 v[26:27], v[26:27], 2
	v_add_f64 v[32:33], v[18:19], v[30:31]
	v_cndmask_b32_e32 v27, 0, v27, vcc_lo
	v_cndmask_b32_e32 v26, 0, v26, vcc_lo
	v_add_f64 v[36:37], v[32:33], v[26:27]
	v_add_f64 v[18:19], v[32:33], -v[18:19]
	v_cmp_gt_f64_e32 vcc_lo, 0, v[36:37]
	v_add_f64 v[36:37], v[34:35], -v[38:39]
	v_add_f64 v[18:19], v[30:31], -v[18:19]
	v_cndmask_b32_e64 v49, 0, 0x40100000, vcc_lo
	v_add_f64 v[53:54], v[34:35], -v[36:37]
	v_add_f64 v[22:23], v[22:23], -v[36:37]
	v_add_f64 v[26:27], v[26:27], v[48:49]
	v_add_f64 v[49:50], v[30:31], -v[34:35]
	v_add_f64 v[36:37], v[38:39], -v[53:54]
	v_add_f64 v[51:52], v[32:33], v[26:27]
	;; [unrolled: 3-line block ×3, first 2 shown]
	v_cvt_i32_f64_e32 v51, v[51:52]
	v_add_f64 v[34:35], v[34:35], -v[64:65]
	v_cvt_f64_i32_e32 v[49:50], v51
	v_add_f64 v[24:25], v[24:25], v[34:35]
	v_add_f64 v[26:27], v[26:27], -v[49:50]
	v_add_f64 v[20:21], v[22:23], v[24:25]
	v_add_f64 v[22:23], v[32:33], v[26:27]
	;; [unrolled: 1-line block ×3, first 2 shown]
	v_add_f64 v[20:21], v[22:23], -v[26:27]
	v_cmp_le_f64_e32 vcc_lo, 0.5, v[22:23]
	v_add_f64 v[16:17], v[18:19], v[16:17]
	v_add_f64 v[18:19], v[32:33], -v[20:21]
	v_cndmask_b32_e64 v49, 0, 0x3ff00000, vcc_lo
	v_add_co_ci_u32_e64 v30, null, 0, v51, vcc_lo
	v_add_f64 v[16:17], v[16:17], v[18:19]
	v_add_f64 v[18:19], v[22:23], -v[48:49]
	v_add_f64 v[20:21], v[18:19], v[16:17]
	v_mul_f64 v[22:23], v[20:21], s[8:9]
	v_add_f64 v[18:19], v[20:21], -v[18:19]
	v_fma_f64 v[24:25], v[20:21], s[8:9], -v[22:23]
	v_add_f64 v[16:17], v[16:17], -v[18:19]
	v_fma_f64 v[18:19], v[20:21], s[10:11], v[24:25]
	v_fma_f64 v[18:19], v[16:17], s[8:9], v[18:19]
	v_add_f64 v[16:17], v[22:23], v[18:19]
	v_add_f64 v[20:21], v[16:17], -v[22:23]
	v_add_f64 v[18:19], v[18:19], -v[20:21]
	s_andn2_saveexec_b32 s4, s4
	s_cbranch_execnz .LBB1_46
	s_branch .LBB1_47
.LBB1_45:
	s_andn2_saveexec_b32 s4, s4
	s_cbranch_execz .LBB1_47
.LBB1_46:
	s_mov_b32 s8, 0x6dc9c883
	s_mov_b32 s9, 0x3fe45f30
	;; [unrolled: 1-line block ×3, first 2 shown]
	v_mul_f64 v[16:17], |v[10:11]|, s[8:9]
	s_mov_b32 s8, 0x54442d18
	s_mov_b32 s9, 0xbff921fb
	;; [unrolled: 1-line block ×3, first 2 shown]
	v_rndne_f64_e32 v[20:21], v[16:17]
	v_fma_f64 v[16:17], v[20:21], s[8:9], |v[10:11]|
	v_mul_f64 v[18:19], v[20:21], s[10:11]
	s_mov_b32 s8, 0x252049c0
	s_mov_b32 s9, 0xb97b839a
	v_cvt_i32_f64_e32 v30, v[20:21]
	v_fma_f64 v[24:25], v[20:21], s[10:11], v[16:17]
	v_add_f64 v[22:23], v[16:17], v[18:19]
	s_mov_b32 s11, 0x3c91a626
	v_add_f64 v[16:17], v[16:17], -v[22:23]
	v_add_f64 v[22:23], v[22:23], -v[24:25]
	v_add_f64 v[16:17], v[16:17], v[18:19]
	v_fma_f64 v[18:19], v[20:21], s[10:11], v[18:19]
	v_add_f64 v[16:17], v[22:23], v[16:17]
	v_add_f64 v[16:17], v[16:17], -v[18:19]
	v_fma_f64 v[18:19], v[20:21], s[8:9], v[16:17]
	v_add_f64 v[16:17], v[24:25], v[18:19]
	v_add_f64 v[22:23], v[16:17], -v[24:25]
	v_add_f64 v[18:19], v[18:19], -v[22:23]
.LBB1_47:
	s_or_b32 exec_lo, exec_lo, s4
	v_div_scale_f64 v[20:21], null, v[2:3], v[2:3], 0x40140000
	s_mov_b32 s8, 0x4c6c651b
	s_mov_b32 s9, 0x3f48f92c
	;; [unrolled: 1-line block ×20, first 2 shown]
	v_rcp_f64_e32 v[22:23], v[20:21]
	s_mov_b32 s22, 0x11110bb3
	s_mov_b32 s23, 0x3f811111
	;; [unrolled: 1-line block ×4, first 2 shown]
	v_cmp_class_f64_e64 s4, v[10:11], 0x1f8
	v_fma_f64 v[24:25], -v[20:21], v[22:23], 1.0
	v_fma_f64 v[22:23], v[22:23], v[24:25], v[22:23]
	v_fma_f64 v[24:25], -v[20:21], v[22:23], 1.0
	v_fma_f64 v[22:23], v[22:23], v[24:25], v[22:23]
	v_div_scale_f64 v[24:25], vcc_lo, 0x40140000, v[2:3], 0x40140000
	v_mul_f64 v[26:27], v[24:25], v[22:23]
	v_fma_f64 v[20:21], -v[20:21], v[26:27], v[24:25]
	v_div_fmas_f64 v[20:21], v[20:21], v[22:23], v[26:27]
	v_div_fixup_f64 v[20:21], v[20:21], v[2:3], 0x40140000
	v_mul_f64 v[22:23], v[20:21], v[20:21]
	v_fma_f64 v[24:25], v[22:23], 0, s[8:9]
	s_mov_b32 s8, 0xa3fec4b6
	s_mov_b32 s9, 0x3fb2b948
	v_fma_f64 v[24:25], v[22:23], v[24:25], s[8:9]
	s_mov_b32 s8, 0xc21596d6
	s_mov_b32 s9, 0x3ff208fe
	;; [unrolled: 3-line block ×13, first 2 shown]
	v_fma_f64 v[26:27], v[22:23], v[26:27], 1.0
	v_fma_f64 v[31:32], v[22:23], v[31:32], s[8:9]
	s_mov_b32 s8, 0x9acf1c67
	s_mov_b32 s9, 0x4052f4b9
	v_fma_f64 v[31:32], v[22:23], v[31:32], s[8:9]
	s_mov_b32 s8, 0x47aa180d
	s_mov_b32 s9, 0x4076ec79
	;; [unrolled: 3-line block ×13, first 2 shown]
	v_fma_f64 v[33:34], v[22:23], v[33:34], s[8:9]
	v_fma_f64 v[22:23], v[22:23], v[24:25], 1.0
	s_mov_b32 s8, 0x9037ab78
	s_mov_b32 s9, 0x3e21eeb6
	v_div_scale_f64 v[24:25], null, v[26:27], v[26:27], v[22:23]
	v_rcp_f64_e32 v[35:36], v[24:25]
	v_fma_f64 v[37:38], -v[24:25], v[35:36], 1.0
	v_fma_f64 v[35:36], v[35:36], v[37:38], v[35:36]
	v_fma_f64 v[37:38], -v[24:25], v[35:36], 1.0
	v_fma_f64 v[35:36], v[35:36], v[37:38], v[35:36]
	v_div_scale_f64 v[37:38], vcc_lo, v[22:23], v[26:27], v[22:23]
	v_mul_f64 v[48:49], v[37:38], v[35:36]
	v_fma_f64 v[24:25], -v[24:25], v[48:49], v[37:38]
	v_div_fmas_f64 v[24:25], v[24:25], v[35:36], v[48:49]
	v_div_fixup_f64 v[22:23], v[24:25], v[26:27], v[22:23]
	v_mul_f64 v[24:25], v[12:13], v[12:13]
	v_mul_f64 v[26:27], v[24:25], 0.5
	v_fma_f64 v[48:49], v[24:25], s[10:11], s[8:9]
	v_add_f64 v[35:36], -v[26:27], 1.0
	v_fma_f64 v[48:49], v[24:25], v[48:49], s[12:13]
	v_add_f64 v[37:38], -v[35:36], 1.0
	v_fma_f64 v[48:49], v[24:25], v[48:49], s[24:25]
	v_add_f64 v[26:27], v[37:38], -v[26:27]
	v_fma_f64 v[48:49], v[24:25], v[48:49], s[26:27]
	v_mul_f64 v[37:38], v[24:25], v[24:25]
	v_fma_f64 v[26:27], v[12:13], -v[14:15], v[26:27]
	v_fma_f64 v[48:49], v[24:25], v[48:49], s[40:41]
	v_fma_f64 v[26:27], v[37:38], v[48:49], v[26:27]
	v_mul_f64 v[37:38], v[12:13], -v[24:25]
	v_mul_f64 v[48:49], v[14:15], 0.5
	v_add_f64 v[26:27], v[35:36], v[26:27]
	v_fma_f64 v[35:36], v[24:25], s[16:17], s[14:15]
	v_fma_f64 v[35:36], v[24:25], v[35:36], s[28:29]
	;; [unrolled: 1-line block ×5, first 2 shown]
	v_fma_f64 v[14:15], v[24:25], v[35:36], -v[14:15]
	v_fma_f64 v[14:15], v[37:38], s[20:21], v[14:15]
	v_add_f64 v[12:13], v[12:13], -v[14:15]
	v_and_b32_e32 v14, 1, v29
	v_cmp_eq_u32_e32 vcc_lo, 0, v14
	v_lshlrev_b32_e32 v14, 30, v29
	v_xor_b32_e32 v14, v14, v11
	v_and_b32_e32 v14, 0x80000000, v14
	v_cndmask_b32_e32 v13, v27, v13, vcc_lo
	v_cndmask_b32_e32 v12, v26, v12, vcc_lo
	v_xor_b32_e32 v13, v13, v14
	v_cndmask_b32_e64 v10, 0, v12, s4
	v_cndmask_b32_e64 v11, 0x7ff80000, v13, s4
	v_div_scale_f64 v[12:13], null, v[33:34], v[33:34], v[31:32]
	v_rcp_f64_e32 v[14:15], v[12:13]
	v_fma_f64 v[24:25], -v[12:13], v[14:15], 1.0
	v_fma_f64 v[14:15], v[14:15], v[24:25], v[14:15]
	v_fma_f64 v[24:25], -v[12:13], v[14:15], 1.0
	v_fma_f64 v[14:15], v[14:15], v[24:25], v[14:15]
	v_div_scale_f64 v[24:25], vcc_lo, v[31:32], v[33:34], v[31:32]
	v_mul_f64 v[26:27], v[24:25], v[14:15]
	v_fma_f64 v[12:13], -v[12:13], v[26:27], v[24:25]
	v_div_fmas_f64 v[12:13], v[12:13], v[14:15], v[26:27]
	v_mul_f64 v[14:15], v[16:17], v[16:17]
	v_div_fixup_f64 v[12:13], v[12:13], v[33:34], v[31:32]
	v_fma_f64 v[31:32], v[14:15], s[10:11], s[8:9]
	s_mov_b32 s8, 0x33d43651
	s_mov_b32 s9, 0x3fe98845
	v_mul_f64 v[12:13], v[20:21], v[12:13]
	v_mul_f64 v[20:21], v[14:15], 0.5
	v_fma_f64 v[31:32], v[14:15], v[31:32], s[12:13]
	v_add_f64 v[24:25], -v[20:21], 1.0
	v_fma_f64 v[31:32], v[14:15], v[31:32], s[24:25]
	v_add_f64 v[26:27], -v[24:25], 1.0
	v_fma_f64 v[31:32], v[14:15], v[31:32], s[26:27]
	v_add_f64 v[20:21], v[26:27], -v[20:21]
	v_mul_f64 v[26:27], v[14:15], v[14:15]
	v_fma_f64 v[31:32], v[14:15], v[31:32], s[40:41]
	v_fma_f64 v[20:21], v[16:17], -v[18:19], v[20:21]
	v_fma_f64 v[20:21], v[26:27], v[31:32], v[20:21]
	v_mul_f64 v[26:27], v[16:17], -v[14:15]
	v_mul_f64 v[31:32], v[18:19], 0.5
	v_add_f64 v[20:21], v[24:25], v[20:21]
	v_fma_f64 v[24:25], v[14:15], s[16:17], s[14:15]
	v_fma_f64 v[24:25], v[14:15], v[24:25], s[28:29]
	;; [unrolled: 1-line block ×5, first 2 shown]
	v_fma_f64 v[14:15], v[14:15], v[24:25], -v[18:19]
	v_fma_f64 v[14:15], v[26:27], s[20:21], v[14:15]
	v_add_f64 v[14:15], v[16:17], -v[14:15]
	v_and_b32_e32 v16, 1, v30
	v_cmp_eq_u32_e32 vcc_lo, 0, v16
	v_lshlrev_b32_e32 v16, 30, v30
	v_and_b32_e32 v16, 0x80000000, v16
	v_xor_b32_e32 v15, 0x80000000, v15
	v_cndmask_b32_e32 v14, v14, v20, vcc_lo
	v_cndmask_b32_e32 v15, v15, v21, vcc_lo
	v_cndmask_b32_e64 v14, 0, v14, s4
	v_cmp_gt_f64_e32 vcc_lo, 0x10000000, v[2:3]
	v_xor_b32_e32 v15, v15, v16
	v_cndmask_b32_e64 v15, 0x7ff80000, v15, s4
	v_mul_f64 v[12:13], v[12:13], v[14:15]
	v_fma_f64 v[10:11], v[22:23], v[10:11], v[12:13]
	v_cndmask_b32_e64 v12, 0, 0x100, vcc_lo
	v_ldexp_f64 v[2:3], v[2:3], v12
	v_mul_f64 v[10:11], v[10:11], s[8:9]
	v_rsq_f64_e32 v[12:13], v[2:3]
	v_mul_f64 v[14:15], v[2:3], v[12:13]
	v_mul_f64 v[12:13], v[12:13], 0.5
	v_fma_f64 v[16:17], -v[12:13], v[14:15], 0.5
	v_fma_f64 v[14:15], v[14:15], v[16:17], v[14:15]
	v_fma_f64 v[12:13], v[12:13], v[16:17], v[12:13]
	v_fma_f64 v[18:19], -v[14:15], v[14:15], v[2:3]
	v_fma_f64 v[14:15], v[18:19], v[12:13], v[14:15]
	v_fma_f64 v[16:17], -v[14:15], v[14:15], v[2:3]
	v_fma_f64 v[12:13], v[16:17], v[12:13], v[14:15]
	v_cndmask_b32_e64 v14, 0, 0xffffff80, vcc_lo
	v_cmp_class_f64_e64 vcc_lo, v[2:3], 0x260
	v_ldexp_f64 v[12:13], v[12:13], v14
	v_cndmask_b32_e32 v3, v13, v3, vcc_lo
	v_cndmask_b32_e32 v2, v12, v2, vcc_lo
	v_div_scale_f64 v[12:13], null, v[2:3], v[2:3], v[10:11]
	v_rcp_f64_e32 v[14:15], v[12:13]
	v_fma_f64 v[16:17], -v[12:13], v[14:15], 1.0
	v_fma_f64 v[14:15], v[14:15], v[16:17], v[14:15]
	v_fma_f64 v[16:17], -v[12:13], v[14:15], 1.0
	v_fma_f64 v[14:15], v[14:15], v[16:17], v[14:15]
	v_div_scale_f64 v[16:17], vcc_lo, v[10:11], v[2:3], v[10:11]
	v_mul_f64 v[18:19], v[16:17], v[14:15]
	v_fma_f64 v[12:13], -v[12:13], v[18:19], v[16:17]
	v_div_fmas_f64 v[12:13], v[12:13], v[14:15], v[18:19]
	v_div_fixup_f64 v[10:11], v[12:13], v[2:3], v[10:11]
.LBB1_48:
	s_or_b32 exec_lo, exec_lo, s5
	s_mov_b32 s4, exec_lo
	v_cmpx_ge_f64_e32 0x40140000, v[4:5]
	s_xor_b32 s8, exec_lo, s4
	s_cbranch_execz .LBB1_54
; %bb.49:
	v_mov_b32_e32 v12, 0
	v_mov_b32_e32 v13, 0xfff00000
	s_mov_b32 s9, exec_lo
	v_cmpx_neq_f64_e32 0, v[4:5]
	s_cbranch_execz .LBB1_53
; %bb.50:
	v_mov_b32_e32 v12, 0
	v_mov_b32_e32 v13, 0x7ff80000
	s_mov_b32 s10, exec_lo
	v_cmpx_nge_f64_e32 0, v[4:5]
	s_cbranch_execz .LBB1_52
; %bb.51:
	v_frexp_mant_f64_e32 v[2:3], v[4:5]
	s_mov_b32 s5, 0x3fe55555
	s_mov_b32 s4, 0x55555555
	;; [unrolled: 1-line block ×8, first 2 shown]
	v_frexp_exp_i32_f64_e32 v33, v[4:5]
	s_mov_b32 s18, 0xfefa39ef
	s_mov_b32 s19, 0x3fe62e42
	v_cmp_gt_f64_e32 vcc_lo, s[4:5], v[2:3]
	s_mov_b32 s4, 0x55555780
	v_cndmask_b32_e64 v12, 0, 1, vcc_lo
	v_ldexp_f64 v[2:3], v[2:3], v12
	v_add_f64 v[12:13], v[2:3], 1.0
	v_add_f64 v[18:19], v[2:3], -1.0
	v_rcp_f64_e32 v[14:15], v[12:13]
	v_add_f64 v[20:21], v[12:13], -1.0
	v_add_f64 v[2:3], v[2:3], -v[20:21]
	v_fma_f64 v[16:17], -v[12:13], v[14:15], 1.0
	v_fma_f64 v[14:15], v[16:17], v[14:15], v[14:15]
	v_fma_f64 v[16:17], -v[12:13], v[14:15], 1.0
	v_fma_f64 v[14:15], v[16:17], v[14:15], v[14:15]
	v_mul_f64 v[16:17], v[18:19], v[14:15]
	v_mul_f64 v[22:23], v[12:13], v[16:17]
	v_fma_f64 v[12:13], v[16:17], v[12:13], -v[22:23]
	v_fma_f64 v[2:3], v[16:17], v[2:3], v[12:13]
	v_add_f64 v[12:13], v[22:23], v[2:3]
	v_add_f64 v[20:21], v[18:19], -v[12:13]
	v_add_f64 v[22:23], v[12:13], -v[22:23]
	;; [unrolled: 1-line block ×5, first 2 shown]
	v_add_f64 v[2:3], v[2:3], v[12:13]
	v_add_f64 v[2:3], v[20:21], v[2:3]
	v_mul_f64 v[20:21], v[4:5], v[4:5]
	v_mul_f64 v[2:3], v[14:15], v[2:3]
	v_add_f64 v[12:13], v[16:17], v[2:3]
	v_mul_f64 v[14:15], v[12:13], v[12:13]
	v_ldexp_f64 v[31:32], v[12:13], 1
	v_fma_f64 v[18:19], v[14:15], s[14:15], s[12:13]
	s_mov_b32 s12, 0xd7f4df2e
	s_mov_b32 s13, 0x3fc7474d
	s_mov_b32 s14, 0x1b7086e7
	s_mov_b32 s15, 0x408366b1
	v_mul_f64 v[29:30], v[12:13], v[14:15]
	v_fma_f64 v[24:25], v[20:21], 0, s[14:15]
	s_mov_b32 s14, 0xdd701b2
	s_mov_b32 s15, 0x410f5eda
	v_add_f64 v[12:13], v[12:13], -v[16:17]
	v_fma_f64 v[18:19], v[14:15], v[18:19], s[12:13]
	s_mov_b32 s12, 0xa93f7ac2
	s_mov_b32 s13, 0x40829269
	v_fma_f64 v[22:23], v[20:21], 0, s[12:13]
	s_mov_b32 s12, 0x16291751
	s_mov_b32 s13, 0x3fcc71c0
	;; [unrolled: 3-line block ×3, first 2 shown]
	v_add_f64 v[2:3], v[2:3], -v[12:13]
	v_fma_f64 v[18:19], v[14:15], v[18:19], s[12:13]
	s_mov_b32 s12, 0xbe58ef7f
	s_mov_b32 s13, 0x410cc160
	v_fma_f64 v[22:23], v[20:21], v[22:23], s[12:13]
	s_mov_b32 s12, 0x9b27acf1
	s_mov_b32 s13, 0x3fd24924
	;; [unrolled: 3-line block ×3, first 2 shown]
	v_ldexp_f64 v[2:3], v[2:3], 1
	v_fma_f64 v[18:19], v[14:15], v[18:19], s[12:13]
	s_mov_b32 s12, 0x62f9b6c5
	s_mov_b32 s13, 0x41d2d2be
	v_fma_f64 v[26:27], v[20:21], 0, s[12:13]
	v_fma_f64 v[22:23], v[20:21], v[22:23], s[14:15]
	s_mov_b32 s12, 0x998ef7b6
	s_mov_b32 s13, 0x3fd99999
	;; [unrolled: 1-line block ×4, first 2 shown]
	v_fma_f64 v[24:25], v[20:21], v[24:25], s[16:17]
	s_mov_b32 s16, 0x8076ffa8
	s_mov_b32 s17, 0x429146fb
	v_fma_f64 v[18:19], v[14:15], v[18:19], s[12:13]
	s_mov_b32 s12, 0x58836521
	s_mov_b32 s13, 0xc262d72d
	v_fma_f64 v[26:27], v[20:21], v[26:27], s[12:13]
	v_fma_f64 v[22:23], v[20:21], v[22:23], s[14:15]
	s_mov_b32 s12, 0xfda99316
	s_mov_b32 s14, 0x4cda4fc5
	;; [unrolled: 1-line block ×4, first 2 shown]
	v_fma_f64 v[24:25], v[20:21], v[24:25], s[16:17]
	s_mov_b32 s16, 0x3eccf45f
	s_mov_b32 s17, 0x43064b0a
	v_fma_f64 v[14:15], v[14:15], v[18:19], s[4:5]
	s_mov_b32 s4, 0xb0910fef
	s_mov_b32 s5, 0x42da0954
	v_fma_f64 v[18:19], v[20:21], v[26:27], s[4:5]
	v_fma_f64 v[22:23], v[20:21], v[22:23], s[12:13]
	;; [unrolled: 1-line block ×3, first 2 shown]
	s_mov_b32 s4, 0x37a1b083
	s_mov_b32 s12, 0xd71d1e4e
	;; [unrolled: 1-line block ×6, first 2 shown]
	v_fma_f64 v[24:25], v[20:21], v[24:25], s[16:17]
	s_mov_b32 s16, 0xf4653f81
	s_mov_b32 s17, 0x4373e0bf
	v_mul_f64 v[14:15], v[29:30], v[14:15]
	v_subrev_co_ci_u32_e64 v29, null, 0, v33, vcc_lo
	v_fma_f64 v[18:19], v[20:21], v[18:19], s[4:5]
	v_fma_f64 v[22:23], v[20:21], v[22:23], s[12:13]
	;; [unrolled: 1-line block ×3, first 2 shown]
	v_cvt_f64_i32_e32 v[29:30], v29
	s_mov_b32 s4, 0xb7366b1
	s_mov_b32 s12, 0xc547a488
	;; [unrolled: 1-line block ×6, first 2 shown]
	v_fma_f64 v[24:25], v[20:21], v[24:25], s[16:17]
	s_mov_b32 s16, 0xa697c482
	s_mov_b32 s17, 0x432a2b42
	v_add_f64 v[16:17], v[31:32], v[14:15]
	v_fma_f64 v[18:19], v[20:21], v[18:19], s[4:5]
	v_fma_f64 v[22:23], v[20:21], v[22:23], s[12:13]
	;; [unrolled: 1-line block ×3, first 2 shown]
	v_mul_f64 v[33:34], v[29:30], s[18:19]
	s_mov_b32 s4, 0x90f6747f
	s_mov_b32 s12, 0x5dde2b17
	;; [unrolled: 1-line block ×6, first 2 shown]
	v_add_f64 v[12:13], v[16:17], -v[31:32]
	v_fma_f64 v[18:19], v[20:21], v[18:19], s[12:13]
	v_fma_f64 v[22:23], v[20:21], v[22:23], s[4:5]
	;; [unrolled: 1-line block ×4, first 2 shown]
	v_fma_f64 v[24:25], v[29:30], s[18:19], -v[33:34]
	s_mov_b32 s4, 0x3b39803f
	s_mov_b32 s5, 0x3c7abc9e
	v_add_f64 v[12:13], v[14:15], -v[12:13]
	v_div_scale_f64 v[14:15], null, v[22:23], v[22:23], v[18:19]
	v_div_scale_f64 v[31:32], null, v[20:21], v[20:21], v[26:27]
	v_fma_f64 v[24:25], v[29:30], s[4:5], v[24:25]
	v_add_f64 v[2:3], v[2:3], v[12:13]
	v_rcp_f64_e32 v[12:13], v[14:15]
	v_rcp_f64_e32 v[29:30], v[31:32]
	v_add_f64 v[35:36], v[33:34], v[24:25]
	v_add_f64 v[37:38], v[16:17], v[2:3]
	v_fma_f64 v[48:49], -v[14:15], v[12:13], 1.0
	v_fma_f64 v[50:51], -v[31:32], v[29:30], 1.0
	v_add_f64 v[33:34], v[35:36], -v[33:34]
	v_add_f64 v[52:53], v[35:36], v[37:38]
	v_add_f64 v[16:17], v[37:38], -v[16:17]
	v_fma_f64 v[12:13], v[12:13], v[48:49], v[12:13]
	v_fma_f64 v[29:30], v[29:30], v[50:51], v[29:30]
	v_div_scale_f64 v[50:51], null, v[4:5], v[4:5], -1.0
	v_add_f64 v[24:25], v[24:25], -v[33:34]
	v_div_scale_f64 v[33:34], vcc_lo, v[18:19], v[22:23], v[18:19]
	v_add_f64 v[48:49], v[52:53], -v[35:36]
	v_add_f64 v[2:3], v[2:3], -v[16:17]
	v_fma_f64 v[54:55], -v[14:15], v[12:13], 1.0
	v_fma_f64 v[64:65], -v[31:32], v[29:30], 1.0
	v_rcp_f64_e32 v[68:69], v[50:51]
	v_add_f64 v[66:67], v[52:53], -v[48:49]
	v_add_f64 v[16:17], v[37:38], -v[48:49]
	v_fma_f64 v[12:13], v[12:13], v[54:55], v[12:13]
	v_div_scale_f64 v[54:55], s4, v[26:27], v[20:21], v[26:27]
	v_fma_f64 v[29:30], v[29:30], v[64:65], v[29:30]
	v_fma_f64 v[37:38], -v[50:51], v[68:69], 1.0
	v_add_f64 v[35:36], v[35:36], -v[66:67]
	v_add_f64 v[66:67], v[24:25], v[2:3]
	v_mul_f64 v[48:49], v[33:34], v[12:13]
	v_mul_f64 v[64:65], v[54:55], v[29:30]
	v_add_f64 v[16:17], v[16:17], v[35:36]
	v_fma_f64 v[35:36], v[68:69], v[37:38], v[68:69]
	v_fma_f64 v[14:15], -v[14:15], v[48:49], v[33:34]
	v_add_f64 v[33:34], v[66:67], -v[24:25]
	v_fma_f64 v[31:32], -v[31:32], v[64:65], v[54:55]
	v_add_f64 v[16:17], v[66:67], v[16:17]
	v_fma_f64 v[37:38], -v[50:51], v[35:36], 1.0
	v_div_fmas_f64 v[12:13], v[14:15], v[12:13], v[48:49]
	s_mov_b32 vcc_lo, s4
	v_add_f64 v[2:3], v[2:3], -v[33:34]
	v_div_fmas_f64 v[14:15], v[31:32], v[29:30], v[64:65]
	v_add_f64 v[29:30], v[66:67], -v[33:34]
	v_div_scale_f64 v[48:49], vcc_lo, -1.0, v[4:5], -1.0
	s_mov_b32 s4, 0x4189822c
	s_mov_b32 s5, 0xc02d5d2b
	v_add_f64 v[31:32], v[52:53], v[16:17]
	v_fma_f64 v[35:36], v[35:36], v[37:38], v[35:36]
	v_div_fixup_f64 v[12:13], v[12:13], v[22:23], v[18:19]
	v_div_fixup_f64 v[14:15], v[14:15], v[20:21], v[26:27]
	v_add_f64 v[20:21], v[24:25], -v[29:30]
	v_fma_f64 v[29:30], v[4:5], v[4:5], s[4:5]
	s_mov_b32 s4, 0x6072a432
	s_mov_b32 s5, 0xc0489bf6
	v_add_f64 v[24:25], v[31:32], -v[52:53]
	v_mul_f64 v[26:27], v[48:49], v[35:36]
	v_mul_f64 v[14:15], v[4:5], v[14:15]
	v_add_f64 v[2:3], v[2:3], v[20:21]
	v_add_f64 v[16:17], v[16:17], -v[24:25]
	v_fma_f64 v[20:21], -v[50:51], v[26:27], v[48:49]
	v_fma_f64 v[24:25], v[4:5], v[4:5], s[4:5]
	s_mov_b32 s4, 0x6dc9c883
	s_mov_b32 s5, 0x3fe45f30
	v_mul_f64 v[14:15], v[29:30], v[14:15]
	v_add_f64 v[2:3], v[2:3], v[16:17]
	v_div_fmas_f64 v[16:17], v[20:21], v[35:36], v[26:27]
	v_mul_f64 v[14:15], v[24:25], v[14:15]
	v_add_f64 v[2:3], v[31:32], v[2:3]
	v_div_fixup_f64 v[16:17], v[16:17], v[4:5], -1.0
	v_fma_f64 v[2:3], v[14:15], v[2:3], v[16:17]
	v_mul_f64 v[2:3], v[2:3], s[4:5]
	v_fma_f64 v[12:13], v[4:5], v[12:13], v[2:3]
.LBB1_52:
	s_or_b32 exec_lo, exec_lo, s10
.LBB1_53:
	s_or_b32 exec_lo, exec_lo, s9
                                        ; implicit-def: $vgpr4_vgpr5
.LBB1_54:
	s_andn2_saveexec_b32 s5, s8
	s_cbranch_execz .LBB1_64
; %bb.55:
	s_mov_b32 s8, 0x7f3321d2
	s_mov_b32 s9, 0xc002d97c
                                        ; implicit-def: $vgpr29
                                        ; implicit-def: $vgpr12_vgpr13
                                        ; implicit-def: $vgpr14_vgpr15
	v_add_f64 v[2:3], v[4:5], s[8:9]
	v_cmp_ngt_f64_e64 s4, 0x41d00000, |v[2:3]|
	v_trig_preop_f64 v[24:25], |v[2:3]|, 0
	v_trig_preop_f64 v[22:23], |v[2:3]|, 1
	v_ldexp_f64 v[26:27], |v[2:3]|, 0xffffff80
	v_trig_preop_f64 v[20:21], |v[2:3]|, 2
	v_and_b32_e32 v31, 0x7fffffff, v3
	s_and_saveexec_b32 s8, s4
	s_xor_b32 s8, exec_lo, s8
	s_cbranch_execz .LBB1_57
; %bb.56:
	v_cmp_le_f64_e64 vcc_lo, 0x7b000000, |v[2:3]|
	v_mov_b32_e32 v50, 0
	s_mov_b32 s10, 0x54442d18
	s_mov_b32 s11, 0x3ff921fb
	;; [unrolled: 1-line block ×4, first 2 shown]
	v_cndmask_b32_e32 v13, v31, v27, vcc_lo
	v_cndmask_b32_e32 v12, v2, v26, vcc_lo
	v_mul_f64 v[14:15], v[24:25], v[12:13]
	v_mul_f64 v[16:17], v[22:23], v[12:13]
	;; [unrolled: 1-line block ×3, first 2 shown]
	v_fma_f64 v[18:19], v[24:25], v[12:13], -v[14:15]
	v_fma_f64 v[48:49], v[22:23], v[12:13], -v[16:17]
	;; [unrolled: 1-line block ×3, first 2 shown]
	v_add_f64 v[29:30], v[16:17], v[18:19]
	v_add_f64 v[32:33], v[29:30], -v[16:17]
	v_add_f64 v[36:37], v[14:15], v[29:30]
	v_add_f64 v[34:35], v[29:30], -v[32:33]
	v_add_f64 v[18:19], v[18:19], -v[32:33]
	v_ldexp_f64 v[32:33], v[36:37], -2
	v_add_f64 v[14:15], v[36:37], -v[14:15]
	v_add_f64 v[16:17], v[16:17], -v[34:35]
	v_add_f64 v[34:35], v[38:39], v[48:49]
	v_cmp_neq_f64_e64 vcc_lo, 0x7ff00000, |v[32:33]|
	v_add_f64 v[14:15], v[29:30], -v[14:15]
	v_add_f64 v[16:17], v[18:19], v[16:17]
	v_fract_f64_e32 v[18:19], v[32:33]
	v_add_f64 v[29:30], v[34:35], v[16:17]
	v_ldexp_f64 v[18:19], v[18:19], 2
	v_add_f64 v[32:33], v[14:15], v[29:30]
	v_cndmask_b32_e32 v19, 0, v19, vcc_lo
	v_cndmask_b32_e32 v18, 0, v18, vcc_lo
	v_add_f64 v[36:37], v[32:33], v[18:19]
	v_add_f64 v[14:15], v[32:33], -v[14:15]
	v_cmp_gt_f64_e32 vcc_lo, 0, v[36:37]
	v_add_f64 v[36:37], v[34:35], -v[38:39]
	v_add_f64 v[14:15], v[29:30], -v[14:15]
	v_cndmask_b32_e64 v51, 0, 0x40100000, vcc_lo
	v_add_f64 v[64:65], v[34:35], -v[36:37]
	v_add_f64 v[36:37], v[48:49], -v[36:37]
	v_add_f64 v[18:19], v[18:19], v[50:51]
	v_add_f64 v[51:52], v[29:30], -v[34:35]
	v_add_f64 v[48:49], v[38:39], -v[64:65]
	v_add_f64 v[53:54], v[32:33], v[18:19]
	;; [unrolled: 3-line block ×3, first 2 shown]
	v_cvt_i32_f64_e32 v53, v[53:54]
	v_add_f64 v[34:35], v[34:35], -v[66:67]
	v_cvt_f64_i32_e32 v[51:52], v53
	v_add_f64 v[16:17], v[16:17], v[34:35]
	v_add_f64 v[18:19], v[18:19], -v[51:52]
	v_add_f64 v[16:17], v[36:37], v[16:17]
	v_add_f64 v[34:35], v[32:33], v[18:19]
	;; [unrolled: 1-line block ×3, first 2 shown]
	v_add_f64 v[16:17], v[34:35], -v[18:19]
	v_cmp_le_f64_e32 vcc_lo, 0.5, v[34:35]
	v_add_f64 v[12:13], v[14:15], v[12:13]
	v_add_f64 v[14:15], v[32:33], -v[16:17]
	v_cndmask_b32_e64 v51, 0, 0x3ff00000, vcc_lo
	v_add_co_ci_u32_e64 v29, null, 0, v53, vcc_lo
	v_add_f64 v[12:13], v[12:13], v[14:15]
	v_add_f64 v[14:15], v[34:35], -v[50:51]
	v_add_f64 v[16:17], v[14:15], v[12:13]
	v_mul_f64 v[18:19], v[16:17], s[10:11]
	v_add_f64 v[14:15], v[16:17], -v[14:15]
	v_fma_f64 v[32:33], v[16:17], s[10:11], -v[18:19]
	v_add_f64 v[12:13], v[12:13], -v[14:15]
	v_fma_f64 v[14:15], v[16:17], s[12:13], v[32:33]
	v_fma_f64 v[14:15], v[12:13], s[10:11], v[14:15]
	v_add_f64 v[12:13], v[18:19], v[14:15]
	v_add_f64 v[16:17], v[12:13], -v[18:19]
	v_add_f64 v[14:15], v[14:15], -v[16:17]
	s_andn2_saveexec_b32 s8, s8
	s_cbranch_execz .LBB1_59
	s_branch .LBB1_58
.LBB1_57:
	s_andn2_saveexec_b32 s8, s8
	s_cbranch_execz .LBB1_59
.LBB1_58:
	s_mov_b32 s10, 0x6dc9c883
	s_mov_b32 s11, 0x3fe45f30
	;; [unrolled: 1-line block ×3, first 2 shown]
	v_mul_f64 v[12:13], |v[2:3]|, s[10:11]
	s_mov_b32 s10, 0x54442d18
	s_mov_b32 s11, 0xbff921fb
	;; [unrolled: 1-line block ×3, first 2 shown]
	v_rndne_f64_e32 v[16:17], v[12:13]
	v_fma_f64 v[12:13], v[16:17], s[10:11], |v[2:3]|
	v_mul_f64 v[14:15], v[16:17], s[12:13]
	s_mov_b32 s10, 0x252049c0
	s_mov_b32 s11, 0xb97b839a
	v_fma_f64 v[29:30], v[16:17], s[12:13], v[12:13]
	v_add_f64 v[18:19], v[12:13], v[14:15]
	s_mov_b32 s13, 0x3c91a626
	v_add_f64 v[12:13], v[12:13], -v[18:19]
	v_add_f64 v[18:19], v[18:19], -v[29:30]
	v_add_f64 v[12:13], v[12:13], v[14:15]
	v_fma_f64 v[14:15], v[16:17], s[12:13], v[14:15]
	v_add_f64 v[12:13], v[18:19], v[12:13]
	v_add_f64 v[12:13], v[12:13], -v[14:15]
	v_fma_f64 v[14:15], v[16:17], s[10:11], v[12:13]
	v_add_f64 v[12:13], v[29:30], v[14:15]
	v_add_f64 v[18:19], v[12:13], -v[29:30]
	v_cvt_i32_f64_e32 v29, v[16:17]
	v_add_f64 v[14:15], v[14:15], -v[18:19]
.LBB1_59:
	s_or_b32 exec_lo, exec_lo, s8
                                        ; implicit-def: $vgpr30
                                        ; implicit-def: $vgpr16_vgpr17
                                        ; implicit-def: $vgpr18_vgpr19
	s_and_saveexec_b32 s8, s4
	s_xor_b32 s4, exec_lo, s8
	s_cbranch_execz .LBB1_61
; %bb.60:
	v_cmp_le_f64_e64 vcc_lo, 0x7b000000, |v[2:3]|
	v_mov_b32_e32 v48, 0
	s_mov_b32 s8, 0x54442d18
	s_mov_b32 s9, 0x3ff921fb
	;; [unrolled: 1-line block ×4, first 2 shown]
	v_cndmask_b32_e32 v17, v31, v27, vcc_lo
	v_cndmask_b32_e32 v16, v2, v26, vcc_lo
	v_mul_f64 v[18:19], v[24:25], v[16:17]
	v_mul_f64 v[26:27], v[22:23], v[16:17]
	;; [unrolled: 1-line block ×3, first 2 shown]
	v_fma_f64 v[24:25], v[24:25], v[16:17], -v[18:19]
	v_fma_f64 v[22:23], v[22:23], v[16:17], -v[26:27]
	;; [unrolled: 1-line block ×3, first 2 shown]
	v_add_f64 v[30:31], v[26:27], v[24:25]
	v_add_f64 v[32:33], v[30:31], -v[26:27]
	v_add_f64 v[36:37], v[18:19], v[30:31]
	v_add_f64 v[34:35], v[30:31], -v[32:33]
	v_add_f64 v[24:25], v[24:25], -v[32:33]
	v_ldexp_f64 v[32:33], v[36:37], -2
	v_add_f64 v[18:19], v[36:37], -v[18:19]
	v_add_f64 v[26:27], v[26:27], -v[34:35]
	v_add_f64 v[34:35], v[38:39], v[22:23]
	v_cmp_neq_f64_e64 vcc_lo, 0x7ff00000, |v[32:33]|
	v_add_f64 v[18:19], v[30:31], -v[18:19]
	v_add_f64 v[24:25], v[24:25], v[26:27]
	v_fract_f64_e32 v[26:27], v[32:33]
	v_add_f64 v[30:31], v[34:35], v[24:25]
	v_ldexp_f64 v[26:27], v[26:27], 2
	v_add_f64 v[32:33], v[18:19], v[30:31]
	v_cndmask_b32_e32 v27, 0, v27, vcc_lo
	v_cndmask_b32_e32 v26, 0, v26, vcc_lo
	v_add_f64 v[36:37], v[32:33], v[26:27]
	v_add_f64 v[18:19], v[32:33], -v[18:19]
	v_cmp_gt_f64_e32 vcc_lo, 0, v[36:37]
	v_add_f64 v[36:37], v[34:35], -v[38:39]
	v_add_f64 v[18:19], v[30:31], -v[18:19]
	v_cndmask_b32_e64 v49, 0, 0x40100000, vcc_lo
	v_add_f64 v[53:54], v[34:35], -v[36:37]
	v_add_f64 v[22:23], v[22:23], -v[36:37]
	v_add_f64 v[26:27], v[26:27], v[48:49]
	v_add_f64 v[49:50], v[30:31], -v[34:35]
	v_add_f64 v[36:37], v[38:39], -v[53:54]
	v_add_f64 v[51:52], v[32:33], v[26:27]
	;; [unrolled: 3-line block ×3, first 2 shown]
	v_cvt_i32_f64_e32 v51, v[51:52]
	v_add_f64 v[34:35], v[34:35], -v[64:65]
	v_cvt_f64_i32_e32 v[49:50], v51
	v_add_f64 v[24:25], v[24:25], v[34:35]
	v_add_f64 v[26:27], v[26:27], -v[49:50]
	v_add_f64 v[20:21], v[22:23], v[24:25]
	v_add_f64 v[22:23], v[32:33], v[26:27]
	;; [unrolled: 1-line block ×3, first 2 shown]
	v_add_f64 v[20:21], v[22:23], -v[26:27]
	v_cmp_le_f64_e32 vcc_lo, 0.5, v[22:23]
	v_add_f64 v[16:17], v[18:19], v[16:17]
	v_add_f64 v[18:19], v[32:33], -v[20:21]
	v_cndmask_b32_e64 v49, 0, 0x3ff00000, vcc_lo
	v_add_co_ci_u32_e64 v30, null, 0, v51, vcc_lo
	v_add_f64 v[16:17], v[16:17], v[18:19]
	v_add_f64 v[18:19], v[22:23], -v[48:49]
	v_add_f64 v[20:21], v[18:19], v[16:17]
	v_mul_f64 v[22:23], v[20:21], s[8:9]
	v_add_f64 v[18:19], v[20:21], -v[18:19]
	v_fma_f64 v[24:25], v[20:21], s[8:9], -v[22:23]
	v_add_f64 v[16:17], v[16:17], -v[18:19]
	v_fma_f64 v[18:19], v[20:21], s[10:11], v[24:25]
	v_fma_f64 v[18:19], v[16:17], s[8:9], v[18:19]
	v_add_f64 v[16:17], v[22:23], v[18:19]
	v_add_f64 v[20:21], v[16:17], -v[22:23]
	v_add_f64 v[18:19], v[18:19], -v[20:21]
	s_andn2_saveexec_b32 s4, s4
	s_cbranch_execnz .LBB1_62
	s_branch .LBB1_63
.LBB1_61:
	s_andn2_saveexec_b32 s4, s4
	s_cbranch_execz .LBB1_63
.LBB1_62:
	s_mov_b32 s8, 0x6dc9c883
	s_mov_b32 s9, 0x3fe45f30
	;; [unrolled: 1-line block ×3, first 2 shown]
	v_mul_f64 v[16:17], |v[2:3]|, s[8:9]
	s_mov_b32 s8, 0x54442d18
	s_mov_b32 s9, 0xbff921fb
	;; [unrolled: 1-line block ×3, first 2 shown]
	v_rndne_f64_e32 v[20:21], v[16:17]
	v_fma_f64 v[16:17], v[20:21], s[8:9], |v[2:3]|
	v_mul_f64 v[18:19], v[20:21], s[10:11]
	s_mov_b32 s8, 0x252049c0
	s_mov_b32 s9, 0xb97b839a
	v_cvt_i32_f64_e32 v30, v[20:21]
	v_fma_f64 v[24:25], v[20:21], s[10:11], v[16:17]
	v_add_f64 v[22:23], v[16:17], v[18:19]
	s_mov_b32 s11, 0x3c91a626
	v_add_f64 v[16:17], v[16:17], -v[22:23]
	v_add_f64 v[22:23], v[22:23], -v[24:25]
	v_add_f64 v[16:17], v[16:17], v[18:19]
	v_fma_f64 v[18:19], v[20:21], s[10:11], v[18:19]
	v_add_f64 v[16:17], v[22:23], v[16:17]
	v_add_f64 v[16:17], v[16:17], -v[18:19]
	v_fma_f64 v[18:19], v[20:21], s[8:9], v[16:17]
	v_add_f64 v[16:17], v[24:25], v[18:19]
	v_add_f64 v[22:23], v[16:17], -v[24:25]
	v_add_f64 v[18:19], v[18:19], -v[22:23]
.LBB1_63:
	s_or_b32 exec_lo, exec_lo, s4
	v_div_scale_f64 v[20:21], null, v[4:5], v[4:5], 0x40140000
	s_mov_b32 s8, 0x4c6c651b
	s_mov_b32 s9, 0x3f48f92c
	;; [unrolled: 1-line block ×20, first 2 shown]
	v_rcp_f64_e32 v[22:23], v[20:21]
	s_mov_b32 s28, 0x11110bb3
	s_mov_b32 s29, 0x3f811111
	;; [unrolled: 1-line block ×4, first 2 shown]
	v_cmp_class_f64_e64 s4, v[2:3], 0x1f8
	v_fma_f64 v[24:25], -v[20:21], v[22:23], 1.0
	v_fma_f64 v[22:23], v[22:23], v[24:25], v[22:23]
	v_fma_f64 v[24:25], -v[20:21], v[22:23], 1.0
	v_fma_f64 v[22:23], v[22:23], v[24:25], v[22:23]
	v_div_scale_f64 v[24:25], vcc_lo, 0x40140000, v[4:5], 0x40140000
	v_mul_f64 v[26:27], v[24:25], v[22:23]
	v_fma_f64 v[20:21], -v[20:21], v[26:27], v[24:25]
	v_div_fmas_f64 v[20:21], v[20:21], v[22:23], v[26:27]
	v_div_fixup_f64 v[20:21], v[20:21], v[4:5], 0x40140000
	v_mul_f64 v[22:23], v[20:21], v[20:21]
	v_fma_f64 v[24:25], v[22:23], 0, s[8:9]
	s_mov_b32 s8, 0xa3fec4b6
	s_mov_b32 s9, 0x3fb2b948
	v_fma_f64 v[24:25], v[22:23], v[24:25], s[8:9]
	s_mov_b32 s8, 0xc21596d6
	s_mov_b32 s9, 0x3ff208fe
	;; [unrolled: 3-line block ×13, first 2 shown]
	v_fma_f64 v[26:27], v[22:23], v[26:27], 1.0
	v_fma_f64 v[31:32], v[22:23], v[31:32], s[8:9]
	s_mov_b32 s8, 0x9acf1c67
	s_mov_b32 s9, 0x4052f4b9
	v_fma_f64 v[31:32], v[22:23], v[31:32], s[8:9]
	s_mov_b32 s8, 0x47aa180d
	s_mov_b32 s9, 0x4076ec79
	;; [unrolled: 3-line block ×13, first 2 shown]
	v_fma_f64 v[33:34], v[22:23], v[33:34], s[8:9]
	v_fma_f64 v[22:23], v[22:23], v[24:25], 1.0
	s_mov_b32 s8, 0x9037ab78
	s_mov_b32 s9, 0x3e21eeb6
	v_div_scale_f64 v[24:25], null, v[26:27], v[26:27], v[22:23]
	v_rcp_f64_e32 v[35:36], v[24:25]
	v_fma_f64 v[37:38], -v[24:25], v[35:36], 1.0
	v_fma_f64 v[35:36], v[35:36], v[37:38], v[35:36]
	v_fma_f64 v[37:38], -v[24:25], v[35:36], 1.0
	v_fma_f64 v[35:36], v[35:36], v[37:38], v[35:36]
	v_div_scale_f64 v[37:38], vcc_lo, v[22:23], v[26:27], v[22:23]
	v_mul_f64 v[48:49], v[37:38], v[35:36]
	v_fma_f64 v[24:25], -v[24:25], v[48:49], v[37:38]
	v_div_fmas_f64 v[24:25], v[24:25], v[35:36], v[48:49]
	v_div_fixup_f64 v[22:23], v[24:25], v[26:27], v[22:23]
	v_mul_f64 v[24:25], v[12:13], v[12:13]
	v_mul_f64 v[26:27], v[24:25], 0.5
	v_fma_f64 v[48:49], v[24:25], s[10:11], s[8:9]
	v_add_f64 v[35:36], -v[26:27], 1.0
	v_fma_f64 v[48:49], v[24:25], v[48:49], s[12:13]
	v_add_f64 v[37:38], -v[35:36], 1.0
	v_fma_f64 v[48:49], v[24:25], v[48:49], s[18:19]
	v_add_f64 v[26:27], v[37:38], -v[26:27]
	v_fma_f64 v[48:49], v[24:25], v[48:49], s[20:21]
	v_mul_f64 v[37:38], v[24:25], v[24:25]
	v_fma_f64 v[26:27], v[12:13], -v[14:15], v[26:27]
	v_fma_f64 v[48:49], v[24:25], v[48:49], s[22:23]
	v_fma_f64 v[26:27], v[37:38], v[48:49], v[26:27]
	v_mul_f64 v[37:38], v[12:13], -v[24:25]
	v_mul_f64 v[48:49], v[14:15], 0.5
	v_add_f64 v[26:27], v[35:36], v[26:27]
	v_fma_f64 v[35:36], v[24:25], s[16:17], s[14:15]
	v_fma_f64 v[35:36], v[24:25], v[35:36], s[24:25]
	;; [unrolled: 1-line block ×5, first 2 shown]
	v_fma_f64 v[14:15], v[24:25], v[35:36], -v[14:15]
	v_fma_f64 v[14:15], v[37:38], s[40:41], v[14:15]
	v_add_f64 v[12:13], v[12:13], -v[14:15]
	v_and_b32_e32 v14, 1, v29
	v_cmp_eq_u32_e32 vcc_lo, 0, v14
	v_lshlrev_b32_e32 v14, 30, v29
	v_xor_b32_e32 v14, v14, v3
	v_and_b32_e32 v14, 0x80000000, v14
	v_cndmask_b32_e32 v13, v27, v13, vcc_lo
	v_cndmask_b32_e32 v12, v26, v12, vcc_lo
	v_xor_b32_e32 v13, v13, v14
	v_cndmask_b32_e64 v2, 0, v12, s4
	v_cndmask_b32_e64 v3, 0x7ff80000, v13, s4
	v_div_scale_f64 v[12:13], null, v[33:34], v[33:34], v[31:32]
	v_rcp_f64_e32 v[14:15], v[12:13]
	v_fma_f64 v[24:25], -v[12:13], v[14:15], 1.0
	v_fma_f64 v[14:15], v[14:15], v[24:25], v[14:15]
	v_fma_f64 v[24:25], -v[12:13], v[14:15], 1.0
	v_fma_f64 v[14:15], v[14:15], v[24:25], v[14:15]
	v_div_scale_f64 v[24:25], vcc_lo, v[31:32], v[33:34], v[31:32]
	v_mul_f64 v[26:27], v[24:25], v[14:15]
	v_fma_f64 v[12:13], -v[12:13], v[26:27], v[24:25]
	v_div_fmas_f64 v[12:13], v[12:13], v[14:15], v[26:27]
	v_mul_f64 v[14:15], v[16:17], v[16:17]
	v_div_fixup_f64 v[12:13], v[12:13], v[33:34], v[31:32]
	v_fma_f64 v[31:32], v[14:15], s[10:11], s[8:9]
	s_mov_b32 s8, 0x33d43651
	s_mov_b32 s9, 0x3fe98845
	v_mul_f64 v[12:13], v[20:21], v[12:13]
	v_mul_f64 v[20:21], v[14:15], 0.5
	v_fma_f64 v[31:32], v[14:15], v[31:32], s[12:13]
	v_add_f64 v[24:25], -v[20:21], 1.0
	v_fma_f64 v[31:32], v[14:15], v[31:32], s[18:19]
	v_add_f64 v[26:27], -v[24:25], 1.0
	v_fma_f64 v[31:32], v[14:15], v[31:32], s[20:21]
	v_add_f64 v[20:21], v[26:27], -v[20:21]
	v_mul_f64 v[26:27], v[14:15], v[14:15]
	v_fma_f64 v[31:32], v[14:15], v[31:32], s[22:23]
	v_fma_f64 v[20:21], v[16:17], -v[18:19], v[20:21]
	v_fma_f64 v[20:21], v[26:27], v[31:32], v[20:21]
	v_mul_f64 v[26:27], v[16:17], -v[14:15]
	v_mul_f64 v[31:32], v[18:19], 0.5
	v_add_f64 v[20:21], v[24:25], v[20:21]
	v_fma_f64 v[24:25], v[14:15], s[16:17], s[14:15]
	v_fma_f64 v[24:25], v[14:15], v[24:25], s[24:25]
	;; [unrolled: 1-line block ×5, first 2 shown]
	v_fma_f64 v[14:15], v[14:15], v[24:25], -v[18:19]
	v_fma_f64 v[14:15], v[26:27], s[40:41], v[14:15]
	v_add_f64 v[14:15], v[16:17], -v[14:15]
	v_and_b32_e32 v16, 1, v30
	v_cmp_eq_u32_e32 vcc_lo, 0, v16
	v_lshlrev_b32_e32 v16, 30, v30
	v_and_b32_e32 v16, 0x80000000, v16
	v_xor_b32_e32 v15, 0x80000000, v15
	v_cndmask_b32_e32 v14, v14, v20, vcc_lo
	v_cndmask_b32_e32 v15, v15, v21, vcc_lo
	v_cndmask_b32_e64 v14, 0, v14, s4
	v_cmp_gt_f64_e32 vcc_lo, 0x10000000, v[4:5]
	v_xor_b32_e32 v15, v15, v16
	v_cndmask_b32_e64 v15, 0x7ff80000, v15, s4
	v_mul_f64 v[12:13], v[12:13], v[14:15]
	v_fma_f64 v[2:3], v[22:23], v[2:3], v[12:13]
	v_cndmask_b32_e64 v12, 0, 0x100, vcc_lo
	v_ldexp_f64 v[4:5], v[4:5], v12
	v_mul_f64 v[2:3], v[2:3], s[8:9]
	v_rsq_f64_e32 v[12:13], v[4:5]
	v_mul_f64 v[14:15], v[4:5], v[12:13]
	v_mul_f64 v[12:13], v[12:13], 0.5
	v_fma_f64 v[16:17], -v[12:13], v[14:15], 0.5
	v_fma_f64 v[14:15], v[14:15], v[16:17], v[14:15]
	v_fma_f64 v[12:13], v[12:13], v[16:17], v[12:13]
	v_fma_f64 v[18:19], -v[14:15], v[14:15], v[4:5]
	v_fma_f64 v[14:15], v[18:19], v[12:13], v[14:15]
	v_fma_f64 v[16:17], -v[14:15], v[14:15], v[4:5]
	v_fma_f64 v[12:13], v[16:17], v[12:13], v[14:15]
	v_cndmask_b32_e64 v14, 0, 0xffffff80, vcc_lo
	v_cmp_class_f64_e64 vcc_lo, v[4:5], 0x260
	v_ldexp_f64 v[12:13], v[12:13], v14
	v_cndmask_b32_e32 v5, v13, v5, vcc_lo
	v_cndmask_b32_e32 v4, v12, v4, vcc_lo
	v_div_scale_f64 v[12:13], null, v[4:5], v[4:5], v[2:3]
	v_rcp_f64_e32 v[14:15], v[12:13]
	v_fma_f64 v[16:17], -v[12:13], v[14:15], 1.0
	v_fma_f64 v[14:15], v[14:15], v[16:17], v[14:15]
	v_fma_f64 v[16:17], -v[12:13], v[14:15], 1.0
	v_fma_f64 v[14:15], v[14:15], v[16:17], v[14:15]
	v_div_scale_f64 v[16:17], vcc_lo, v[2:3], v[4:5], v[2:3]
	v_mul_f64 v[18:19], v[16:17], v[14:15]
	v_fma_f64 v[12:13], -v[12:13], v[18:19], v[16:17]
	v_div_fmas_f64 v[12:13], v[12:13], v[14:15], v[18:19]
	v_div_fixup_f64 v[12:13], v[12:13], v[4:5], v[2:3]
.LBB1_64:
	s_or_b32 exec_lo, exec_lo, s5
	v_add_co_u32 v0, vcc_lo, v0, s6
	v_add_co_ci_u32_e64 v1, null, s7, v1, vcc_lo
	v_add_co_u32 v0, vcc_lo, v0, v28
	v_add_co_ci_u32_e64 v1, null, 0, v1, vcc_lo
	flat_store_dwordx4 v[0:1], v[6:9]
	flat_store_dwordx4 v[0:1], v[10:13] offset:16
	s_waitcnt lgkmcnt(0)
	s_setpc_b64 s[30:31]
.Lfunc_end1:
	.size	_ZN2at6native25elementwise_kernel_helperILb0EZZZNS0_12_GLOBAL__N_121bessel_y1_kernel_cudaERNS_18TensorIteratorBaseEENKUlvE_clEvENKUlvE_clEvEUldE_NS0_6memory8policies10vectorizedILi4ESt5arrayIPcLm2EELi4EEEEEvT0_T1_, .Lfunc_end1-_ZN2at6native25elementwise_kernel_helperILb0EZZZNS0_12_GLOBAL__N_121bessel_y1_kernel_cudaERNS_18TensorIteratorBaseEENKUlvE_clEvENKUlvE_clEvEUldE_NS0_6memory8policies10vectorizedILi4ESt5arrayIPcLm2EELi4EEEEEvT0_T1_
                                        ; -- End function
	.set .L_ZN2at6native25elementwise_kernel_helperILb0EZZZNS0_12_GLOBAL__N_121bessel_y1_kernel_cudaERNS_18TensorIteratorBaseEENKUlvE_clEvENKUlvE_clEvEUldE_NS0_6memory8policies10vectorizedILi4ESt5arrayIPcLm2EELi4EEEEEvT0_T1_.num_vgpr, 70
	.set .L_ZN2at6native25elementwise_kernel_helperILb0EZZZNS0_12_GLOBAL__N_121bessel_y1_kernel_cudaERNS_18TensorIteratorBaseEENKUlvE_clEvENKUlvE_clEvEUldE_NS0_6memory8policies10vectorizedILi4ESt5arrayIPcLm2EELi4EEEEEvT0_T1_.num_agpr, 0
	.set .L_ZN2at6native25elementwise_kernel_helperILb0EZZZNS0_12_GLOBAL__N_121bessel_y1_kernel_cudaERNS_18TensorIteratorBaseEENKUlvE_clEvENKUlvE_clEvEUldE_NS0_6memory8policies10vectorizedILi4ESt5arrayIPcLm2EELi4EEEEEvT0_T1_.numbered_sgpr, 42
	.set .L_ZN2at6native25elementwise_kernel_helperILb0EZZZNS0_12_GLOBAL__N_121bessel_y1_kernel_cudaERNS_18TensorIteratorBaseEENKUlvE_clEvENKUlvE_clEvEUldE_NS0_6memory8policies10vectorizedILi4ESt5arrayIPcLm2EELi4EEEEEvT0_T1_.num_named_barrier, 0
	.set .L_ZN2at6native25elementwise_kernel_helperILb0EZZZNS0_12_GLOBAL__N_121bessel_y1_kernel_cudaERNS_18TensorIteratorBaseEENKUlvE_clEvENKUlvE_clEvEUldE_NS0_6memory8policies10vectorizedILi4ESt5arrayIPcLm2EELi4EEEEEvT0_T1_.private_seg_size, 0
	.set .L_ZN2at6native25elementwise_kernel_helperILb0EZZZNS0_12_GLOBAL__N_121bessel_y1_kernel_cudaERNS_18TensorIteratorBaseEENKUlvE_clEvENKUlvE_clEvEUldE_NS0_6memory8policies10vectorizedILi4ESt5arrayIPcLm2EELi4EEEEEvT0_T1_.uses_vcc, 1
	.set .L_ZN2at6native25elementwise_kernel_helperILb0EZZZNS0_12_GLOBAL__N_121bessel_y1_kernel_cudaERNS_18TensorIteratorBaseEENKUlvE_clEvENKUlvE_clEvEUldE_NS0_6memory8policies10vectorizedILi4ESt5arrayIPcLm2EELi4EEEEEvT0_T1_.uses_flat_scratch, 1
	.set .L_ZN2at6native25elementwise_kernel_helperILb0EZZZNS0_12_GLOBAL__N_121bessel_y1_kernel_cudaERNS_18TensorIteratorBaseEENKUlvE_clEvENKUlvE_clEvEUldE_NS0_6memory8policies10vectorizedILi4ESt5arrayIPcLm2EELi4EEEEEvT0_T1_.has_dyn_sized_stack, 0
	.set .L_ZN2at6native25elementwise_kernel_helperILb0EZZZNS0_12_GLOBAL__N_121bessel_y1_kernel_cudaERNS_18TensorIteratorBaseEENKUlvE_clEvENKUlvE_clEvEUldE_NS0_6memory8policies10vectorizedILi4ESt5arrayIPcLm2EELi4EEEEEvT0_T1_.has_recursion, 0
	.set .L_ZN2at6native25elementwise_kernel_helperILb0EZZZNS0_12_GLOBAL__N_121bessel_y1_kernel_cudaERNS_18TensorIteratorBaseEENKUlvE_clEvENKUlvE_clEvEUldE_NS0_6memory8policies10vectorizedILi4ESt5arrayIPcLm2EELi4EEEEEvT0_T1_.has_indirect_call, 0
	.section	.AMDGPU.csdata,"",@progbits
; Function info:
; codeLenInByte = 21728
; TotalNumSgprs: 44
; NumVgprs: 70
; ScratchSize: 0
; MemoryBound: 0
	.section	.text._ZN2at6native29vectorized_elementwise_kernelILi16EZZZNS0_12_GLOBAL__N_121bessel_y1_kernel_cudaERNS_18TensorIteratorBaseEENKUlvE_clEvENKUlvE_clEvEUldE_St5arrayIPcLm2EEEEviT0_T1_,"axG",@progbits,_ZN2at6native29vectorized_elementwise_kernelILi16EZZZNS0_12_GLOBAL__N_121bessel_y1_kernel_cudaERNS_18TensorIteratorBaseEENKUlvE_clEvENKUlvE_clEvEUldE_St5arrayIPcLm2EEEEviT0_T1_,comdat
	.globl	_ZN2at6native29vectorized_elementwise_kernelILi16EZZZNS0_12_GLOBAL__N_121bessel_y1_kernel_cudaERNS_18TensorIteratorBaseEENKUlvE_clEvENKUlvE_clEvEUldE_St5arrayIPcLm2EEEEviT0_T1_ ; -- Begin function _ZN2at6native29vectorized_elementwise_kernelILi16EZZZNS0_12_GLOBAL__N_121bessel_y1_kernel_cudaERNS_18TensorIteratorBaseEENKUlvE_clEvENKUlvE_clEvEUldE_St5arrayIPcLm2EEEEviT0_T1_
	.p2align	8
	.type	_ZN2at6native29vectorized_elementwise_kernelILi16EZZZNS0_12_GLOBAL__N_121bessel_y1_kernel_cudaERNS_18TensorIteratorBaseEENKUlvE_clEvENKUlvE_clEvEUldE_St5arrayIPcLm2EEEEviT0_T1_,@function
_ZN2at6native29vectorized_elementwise_kernelILi16EZZZNS0_12_GLOBAL__N_121bessel_y1_kernel_cudaERNS_18TensorIteratorBaseEENKUlvE_clEvENKUlvE_clEvEUldE_St5arrayIPcLm2EEEEviT0_T1_: ; @_ZN2at6native29vectorized_elementwise_kernelILi16EZZZNS0_12_GLOBAL__N_121bessel_y1_kernel_cudaERNS_18TensorIteratorBaseEENKUlvE_clEvENKUlvE_clEvEUldE_St5arrayIPcLm2EEEEviT0_T1_
; %bb.0:
	s_mov_b32 s33, s6
	s_clause 0x1
	s_load_dword s6, s[4:5], 0x0
	s_load_dwordx4 s[36:39], s[4:5], 0x8
	s_add_u32 s0, s0, s7
	s_addc_u32 s1, s1, 0
	s_lshl_b32 s4, s33, 10
	v_mov_b32_e32 v40, v0
	s_mov_b32 s32, 0
	s_waitcnt lgkmcnt(0)
	s_sub_i32 s34, s6, s4
	s_mov_b32 s4, -1
	s_cmpk_gt_i32 s34, 0x3ff
	s_cbranch_scc1 .LBB2_3
; %bb.1:
	s_andn2_b32 vcc_lo, exec_lo, s4
	s_cbranch_vccz .LBB2_4
.LBB2_2:
	s_endpgm
.LBB2_3:
	v_mov_b32_e32 v31, v40
	v_mov_b32_e32 v0, s36
	;; [unrolled: 1-line block ×5, first 2 shown]
	s_getpc_b64 s[4:5]
	s_add_u32 s4, s4, _ZN2at6native25elementwise_kernel_helperILb0EZZZNS0_12_GLOBAL__N_121bessel_y1_kernel_cudaERNS_18TensorIteratorBaseEENKUlvE_clEvENKUlvE_clEvEUldE_NS0_6memory8policies10vectorizedILi4ESt5arrayIPcLm2EELi4EEEEEvT0_T1_@rel32@lo+4
	s_addc_u32 s5, s5, _ZN2at6native25elementwise_kernel_helperILb0EZZZNS0_12_GLOBAL__N_121bessel_y1_kernel_cudaERNS_18TensorIteratorBaseEENKUlvE_clEvENKUlvE_clEvEUldE_NS0_6memory8policies10vectorizedILi4ESt5arrayIPcLm2EELi4EEEEEvT0_T1_@rel32@hi+12
	s_mov_b32 s12, s33
	s_swappc_b64 s[30:31], s[4:5]
	s_cbranch_execnz .LBB2_2
.LBB2_4:
	v_mov_b32_e32 v31, v40
	v_mov_b32_e32 v0, s36
	;; [unrolled: 1-line block ×6, first 2 shown]
	s_getpc_b64 s[4:5]
	s_add_u32 s4, s4, _ZN2at6native25elementwise_kernel_helperILb0EZZZNS0_12_GLOBAL__N_121bessel_y1_kernel_cudaERNS_18TensorIteratorBaseEENKUlvE_clEvENKUlvE_clEvEUldE_NS0_6memory8policies11unroll_baseILi256ESt5arrayIPcLm2EE23TrivialOffsetCalculatorILi1EjESF_NS8_15LoadWithoutCastENS8_16StoreWithoutCastELi4ELi1EEEEEvT0_T1_@rel32@lo+4
	s_addc_u32 s5, s5, _ZN2at6native25elementwise_kernel_helperILb0EZZZNS0_12_GLOBAL__N_121bessel_y1_kernel_cudaERNS_18TensorIteratorBaseEENKUlvE_clEvENKUlvE_clEvEUldE_NS0_6memory8policies11unroll_baseILi256ESt5arrayIPcLm2EE23TrivialOffsetCalculatorILi1EjESF_NS8_15LoadWithoutCastENS8_16StoreWithoutCastELi4ELi1EEEEEvT0_T1_@rel32@hi+12
	s_mov_b32 s12, s33
	s_swappc_b64 s[30:31], s[4:5]
	s_endpgm
	.section	.rodata,"a",@progbits
	.p2align	6, 0x0
	.amdhsa_kernel _ZN2at6native29vectorized_elementwise_kernelILi16EZZZNS0_12_GLOBAL__N_121bessel_y1_kernel_cudaERNS_18TensorIteratorBaseEENKUlvE_clEvENKUlvE_clEvEUldE_St5arrayIPcLm2EEEEviT0_T1_
		.amdhsa_group_segment_fixed_size 0
		.amdhsa_private_segment_fixed_size 0
		.amdhsa_kernarg_size 24
		.amdhsa_user_sgpr_count 6
		.amdhsa_user_sgpr_private_segment_buffer 1
		.amdhsa_user_sgpr_dispatch_ptr 0
		.amdhsa_user_sgpr_queue_ptr 0
		.amdhsa_user_sgpr_kernarg_segment_ptr 1
		.amdhsa_user_sgpr_dispatch_id 0
		.amdhsa_user_sgpr_flat_scratch_init 0
		.amdhsa_user_sgpr_private_segment_size 0
		.amdhsa_wavefront_size32 1
		.amdhsa_uses_dynamic_stack 0
		.amdhsa_system_sgpr_private_segment_wavefront_offset 0
		.amdhsa_system_sgpr_workgroup_id_x 1
		.amdhsa_system_sgpr_workgroup_id_y 0
		.amdhsa_system_sgpr_workgroup_id_z 0
		.amdhsa_system_sgpr_workgroup_info 0
		.amdhsa_system_vgpr_workitem_id 0
		.amdhsa_next_free_vgpr 84
		.amdhsa_next_free_sgpr 43
		.amdhsa_reserve_vcc 1
		.amdhsa_reserve_flat_scratch 1
		.amdhsa_float_round_mode_32 0
		.amdhsa_float_round_mode_16_64 0
		.amdhsa_float_denorm_mode_32 3
		.amdhsa_float_denorm_mode_16_64 3
		.amdhsa_dx10_clamp 1
		.amdhsa_ieee_mode 1
		.amdhsa_fp16_overflow 0
		.amdhsa_workgroup_processor_mode 1
		.amdhsa_memory_ordered 1
		.amdhsa_forward_progress 1
		.amdhsa_shared_vgpr_count 0
		.amdhsa_exception_fp_ieee_invalid_op 0
		.amdhsa_exception_fp_denorm_src 0
		.amdhsa_exception_fp_ieee_div_zero 0
		.amdhsa_exception_fp_ieee_overflow 0
		.amdhsa_exception_fp_ieee_underflow 0
		.amdhsa_exception_fp_ieee_inexact 0
		.amdhsa_exception_int_div_zero 0
	.end_amdhsa_kernel
	.section	.text._ZN2at6native29vectorized_elementwise_kernelILi16EZZZNS0_12_GLOBAL__N_121bessel_y1_kernel_cudaERNS_18TensorIteratorBaseEENKUlvE_clEvENKUlvE_clEvEUldE_St5arrayIPcLm2EEEEviT0_T1_,"axG",@progbits,_ZN2at6native29vectorized_elementwise_kernelILi16EZZZNS0_12_GLOBAL__N_121bessel_y1_kernel_cudaERNS_18TensorIteratorBaseEENKUlvE_clEvENKUlvE_clEvEUldE_St5arrayIPcLm2EEEEviT0_T1_,comdat
.Lfunc_end2:
	.size	_ZN2at6native29vectorized_elementwise_kernelILi16EZZZNS0_12_GLOBAL__N_121bessel_y1_kernel_cudaERNS_18TensorIteratorBaseEENKUlvE_clEvENKUlvE_clEvEUldE_St5arrayIPcLm2EEEEviT0_T1_, .Lfunc_end2-_ZN2at6native29vectorized_elementwise_kernelILi16EZZZNS0_12_GLOBAL__N_121bessel_y1_kernel_cudaERNS_18TensorIteratorBaseEENKUlvE_clEvENKUlvE_clEvEUldE_St5arrayIPcLm2EEEEviT0_T1_
                                        ; -- End function
	.set _ZN2at6native29vectorized_elementwise_kernelILi16EZZZNS0_12_GLOBAL__N_121bessel_y1_kernel_cudaERNS_18TensorIteratorBaseEENKUlvE_clEvENKUlvE_clEvEUldE_St5arrayIPcLm2EEEEviT0_T1_.num_vgpr, max(41, .L_ZN2at6native25elementwise_kernel_helperILb0EZZZNS0_12_GLOBAL__N_121bessel_y1_kernel_cudaERNS_18TensorIteratorBaseEENKUlvE_clEvENKUlvE_clEvEUldE_NS0_6memory8policies10vectorizedILi4ESt5arrayIPcLm2EELi4EEEEEvT0_T1_.num_vgpr, .L_ZN2at6native25elementwise_kernel_helperILb0EZZZNS0_12_GLOBAL__N_121bessel_y1_kernel_cudaERNS_18TensorIteratorBaseEENKUlvE_clEvENKUlvE_clEvEUldE_NS0_6memory8policies11unroll_baseILi256ESt5arrayIPcLm2EE23TrivialOffsetCalculatorILi1EjESF_NS8_15LoadWithoutCastENS8_16StoreWithoutCastELi4ELi1EEEEEvT0_T1_.num_vgpr)
	.set _ZN2at6native29vectorized_elementwise_kernelILi16EZZZNS0_12_GLOBAL__N_121bessel_y1_kernel_cudaERNS_18TensorIteratorBaseEENKUlvE_clEvENKUlvE_clEvEUldE_St5arrayIPcLm2EEEEviT0_T1_.num_agpr, max(0, .L_ZN2at6native25elementwise_kernel_helperILb0EZZZNS0_12_GLOBAL__N_121bessel_y1_kernel_cudaERNS_18TensorIteratorBaseEENKUlvE_clEvENKUlvE_clEvEUldE_NS0_6memory8policies10vectorizedILi4ESt5arrayIPcLm2EELi4EEEEEvT0_T1_.num_agpr, .L_ZN2at6native25elementwise_kernel_helperILb0EZZZNS0_12_GLOBAL__N_121bessel_y1_kernel_cudaERNS_18TensorIteratorBaseEENKUlvE_clEvENKUlvE_clEvEUldE_NS0_6memory8policies11unroll_baseILi256ESt5arrayIPcLm2EE23TrivialOffsetCalculatorILi1EjESF_NS8_15LoadWithoutCastENS8_16StoreWithoutCastELi4ELi1EEEEEvT0_T1_.num_agpr)
	.set _ZN2at6native29vectorized_elementwise_kernelILi16EZZZNS0_12_GLOBAL__N_121bessel_y1_kernel_cudaERNS_18TensorIteratorBaseEENKUlvE_clEvENKUlvE_clEvEUldE_St5arrayIPcLm2EEEEviT0_T1_.numbered_sgpr, max(40, .L_ZN2at6native25elementwise_kernel_helperILb0EZZZNS0_12_GLOBAL__N_121bessel_y1_kernel_cudaERNS_18TensorIteratorBaseEENKUlvE_clEvENKUlvE_clEvEUldE_NS0_6memory8policies10vectorizedILi4ESt5arrayIPcLm2EELi4EEEEEvT0_T1_.numbered_sgpr, .L_ZN2at6native25elementwise_kernel_helperILb0EZZZNS0_12_GLOBAL__N_121bessel_y1_kernel_cudaERNS_18TensorIteratorBaseEENKUlvE_clEvENKUlvE_clEvEUldE_NS0_6memory8policies11unroll_baseILi256ESt5arrayIPcLm2EE23TrivialOffsetCalculatorILi1EjESF_NS8_15LoadWithoutCastENS8_16StoreWithoutCastELi4ELi1EEEEEvT0_T1_.numbered_sgpr)
	.set _ZN2at6native29vectorized_elementwise_kernelILi16EZZZNS0_12_GLOBAL__N_121bessel_y1_kernel_cudaERNS_18TensorIteratorBaseEENKUlvE_clEvENKUlvE_clEvEUldE_St5arrayIPcLm2EEEEviT0_T1_.num_named_barrier, max(0, .L_ZN2at6native25elementwise_kernel_helperILb0EZZZNS0_12_GLOBAL__N_121bessel_y1_kernel_cudaERNS_18TensorIteratorBaseEENKUlvE_clEvENKUlvE_clEvEUldE_NS0_6memory8policies10vectorizedILi4ESt5arrayIPcLm2EELi4EEEEEvT0_T1_.num_named_barrier, .L_ZN2at6native25elementwise_kernel_helperILb0EZZZNS0_12_GLOBAL__N_121bessel_y1_kernel_cudaERNS_18TensorIteratorBaseEENKUlvE_clEvENKUlvE_clEvEUldE_NS0_6memory8policies11unroll_baseILi256ESt5arrayIPcLm2EE23TrivialOffsetCalculatorILi1EjESF_NS8_15LoadWithoutCastENS8_16StoreWithoutCastELi4ELi1EEEEEvT0_T1_.num_named_barrier)
	.set _ZN2at6native29vectorized_elementwise_kernelILi16EZZZNS0_12_GLOBAL__N_121bessel_y1_kernel_cudaERNS_18TensorIteratorBaseEENKUlvE_clEvENKUlvE_clEvEUldE_St5arrayIPcLm2EEEEviT0_T1_.private_seg_size, 0+max(.L_ZN2at6native25elementwise_kernel_helperILb0EZZZNS0_12_GLOBAL__N_121bessel_y1_kernel_cudaERNS_18TensorIteratorBaseEENKUlvE_clEvENKUlvE_clEvEUldE_NS0_6memory8policies10vectorizedILi4ESt5arrayIPcLm2EELi4EEEEEvT0_T1_.private_seg_size, .L_ZN2at6native25elementwise_kernel_helperILb0EZZZNS0_12_GLOBAL__N_121bessel_y1_kernel_cudaERNS_18TensorIteratorBaseEENKUlvE_clEvENKUlvE_clEvEUldE_NS0_6memory8policies11unroll_baseILi256ESt5arrayIPcLm2EE23TrivialOffsetCalculatorILi1EjESF_NS8_15LoadWithoutCastENS8_16StoreWithoutCastELi4ELi1EEEEEvT0_T1_.private_seg_size)
	.set _ZN2at6native29vectorized_elementwise_kernelILi16EZZZNS0_12_GLOBAL__N_121bessel_y1_kernel_cudaERNS_18TensorIteratorBaseEENKUlvE_clEvENKUlvE_clEvEUldE_St5arrayIPcLm2EEEEviT0_T1_.uses_vcc, or(1, .L_ZN2at6native25elementwise_kernel_helperILb0EZZZNS0_12_GLOBAL__N_121bessel_y1_kernel_cudaERNS_18TensorIteratorBaseEENKUlvE_clEvENKUlvE_clEvEUldE_NS0_6memory8policies10vectorizedILi4ESt5arrayIPcLm2EELi4EEEEEvT0_T1_.uses_vcc, .L_ZN2at6native25elementwise_kernel_helperILb0EZZZNS0_12_GLOBAL__N_121bessel_y1_kernel_cudaERNS_18TensorIteratorBaseEENKUlvE_clEvENKUlvE_clEvEUldE_NS0_6memory8policies11unroll_baseILi256ESt5arrayIPcLm2EE23TrivialOffsetCalculatorILi1EjESF_NS8_15LoadWithoutCastENS8_16StoreWithoutCastELi4ELi1EEEEEvT0_T1_.uses_vcc)
	.set _ZN2at6native29vectorized_elementwise_kernelILi16EZZZNS0_12_GLOBAL__N_121bessel_y1_kernel_cudaERNS_18TensorIteratorBaseEENKUlvE_clEvENKUlvE_clEvEUldE_St5arrayIPcLm2EEEEviT0_T1_.uses_flat_scratch, or(0, .L_ZN2at6native25elementwise_kernel_helperILb0EZZZNS0_12_GLOBAL__N_121bessel_y1_kernel_cudaERNS_18TensorIteratorBaseEENKUlvE_clEvENKUlvE_clEvEUldE_NS0_6memory8policies10vectorizedILi4ESt5arrayIPcLm2EELi4EEEEEvT0_T1_.uses_flat_scratch, .L_ZN2at6native25elementwise_kernel_helperILb0EZZZNS0_12_GLOBAL__N_121bessel_y1_kernel_cudaERNS_18TensorIteratorBaseEENKUlvE_clEvENKUlvE_clEvEUldE_NS0_6memory8policies11unroll_baseILi256ESt5arrayIPcLm2EE23TrivialOffsetCalculatorILi1EjESF_NS8_15LoadWithoutCastENS8_16StoreWithoutCastELi4ELi1EEEEEvT0_T1_.uses_flat_scratch)
	.set _ZN2at6native29vectorized_elementwise_kernelILi16EZZZNS0_12_GLOBAL__N_121bessel_y1_kernel_cudaERNS_18TensorIteratorBaseEENKUlvE_clEvENKUlvE_clEvEUldE_St5arrayIPcLm2EEEEviT0_T1_.has_dyn_sized_stack, or(0, .L_ZN2at6native25elementwise_kernel_helperILb0EZZZNS0_12_GLOBAL__N_121bessel_y1_kernel_cudaERNS_18TensorIteratorBaseEENKUlvE_clEvENKUlvE_clEvEUldE_NS0_6memory8policies10vectorizedILi4ESt5arrayIPcLm2EELi4EEEEEvT0_T1_.has_dyn_sized_stack, .L_ZN2at6native25elementwise_kernel_helperILb0EZZZNS0_12_GLOBAL__N_121bessel_y1_kernel_cudaERNS_18TensorIteratorBaseEENKUlvE_clEvENKUlvE_clEvEUldE_NS0_6memory8policies11unroll_baseILi256ESt5arrayIPcLm2EE23TrivialOffsetCalculatorILi1EjESF_NS8_15LoadWithoutCastENS8_16StoreWithoutCastELi4ELi1EEEEEvT0_T1_.has_dyn_sized_stack)
	.set _ZN2at6native29vectorized_elementwise_kernelILi16EZZZNS0_12_GLOBAL__N_121bessel_y1_kernel_cudaERNS_18TensorIteratorBaseEENKUlvE_clEvENKUlvE_clEvEUldE_St5arrayIPcLm2EEEEviT0_T1_.has_recursion, or(0, .L_ZN2at6native25elementwise_kernel_helperILb0EZZZNS0_12_GLOBAL__N_121bessel_y1_kernel_cudaERNS_18TensorIteratorBaseEENKUlvE_clEvENKUlvE_clEvEUldE_NS0_6memory8policies10vectorizedILi4ESt5arrayIPcLm2EELi4EEEEEvT0_T1_.has_recursion, .L_ZN2at6native25elementwise_kernel_helperILb0EZZZNS0_12_GLOBAL__N_121bessel_y1_kernel_cudaERNS_18TensorIteratorBaseEENKUlvE_clEvENKUlvE_clEvEUldE_NS0_6memory8policies11unroll_baseILi256ESt5arrayIPcLm2EE23TrivialOffsetCalculatorILi1EjESF_NS8_15LoadWithoutCastENS8_16StoreWithoutCastELi4ELi1EEEEEvT0_T1_.has_recursion)
	.set _ZN2at6native29vectorized_elementwise_kernelILi16EZZZNS0_12_GLOBAL__N_121bessel_y1_kernel_cudaERNS_18TensorIteratorBaseEENKUlvE_clEvENKUlvE_clEvEUldE_St5arrayIPcLm2EEEEviT0_T1_.has_indirect_call, or(0, .L_ZN2at6native25elementwise_kernel_helperILb0EZZZNS0_12_GLOBAL__N_121bessel_y1_kernel_cudaERNS_18TensorIteratorBaseEENKUlvE_clEvENKUlvE_clEvEUldE_NS0_6memory8policies10vectorizedILi4ESt5arrayIPcLm2EELi4EEEEEvT0_T1_.has_indirect_call, .L_ZN2at6native25elementwise_kernel_helperILb0EZZZNS0_12_GLOBAL__N_121bessel_y1_kernel_cudaERNS_18TensorIteratorBaseEENKUlvE_clEvENKUlvE_clEvEUldE_NS0_6memory8policies11unroll_baseILi256ESt5arrayIPcLm2EE23TrivialOffsetCalculatorILi1EjESF_NS8_15LoadWithoutCastENS8_16StoreWithoutCastELi4ELi1EEEEEvT0_T1_.has_indirect_call)
	.section	.AMDGPU.csdata,"",@progbits
; Kernel info:
; codeLenInByte = 184
; TotalNumSgprs: 45
; NumVgprs: 84
; ScratchSize: 0
; MemoryBound: 0
; FloatMode: 240
; IeeeMode: 1
; LDSByteSize: 0 bytes/workgroup (compile time only)
; SGPRBlocks: 0
; VGPRBlocks: 10
; NumSGPRsForWavesPerEU: 45
; NumVGPRsForWavesPerEU: 84
; Occupancy: 10
; WaveLimiterHint : 0
; COMPUTE_PGM_RSRC2:SCRATCH_EN: 0
; COMPUTE_PGM_RSRC2:USER_SGPR: 6
; COMPUTE_PGM_RSRC2:TRAP_HANDLER: 0
; COMPUTE_PGM_RSRC2:TGID_X_EN: 1
; COMPUTE_PGM_RSRC2:TGID_Y_EN: 0
; COMPUTE_PGM_RSRC2:TGID_Z_EN: 0
; COMPUTE_PGM_RSRC2:TIDIG_COMP_CNT: 0
	.section	.text._ZN2at6native29vectorized_elementwise_kernelILi8EZZZNS0_12_GLOBAL__N_121bessel_y1_kernel_cudaERNS_18TensorIteratorBaseEENKUlvE_clEvENKUlvE_clEvEUldE_St5arrayIPcLm2EEEEviT0_T1_,"axG",@progbits,_ZN2at6native29vectorized_elementwise_kernelILi8EZZZNS0_12_GLOBAL__N_121bessel_y1_kernel_cudaERNS_18TensorIteratorBaseEENKUlvE_clEvENKUlvE_clEvEUldE_St5arrayIPcLm2EEEEviT0_T1_,comdat
	.globl	_ZN2at6native29vectorized_elementwise_kernelILi8EZZZNS0_12_GLOBAL__N_121bessel_y1_kernel_cudaERNS_18TensorIteratorBaseEENKUlvE_clEvENKUlvE_clEvEUldE_St5arrayIPcLm2EEEEviT0_T1_ ; -- Begin function _ZN2at6native29vectorized_elementwise_kernelILi8EZZZNS0_12_GLOBAL__N_121bessel_y1_kernel_cudaERNS_18TensorIteratorBaseEENKUlvE_clEvENKUlvE_clEvEUldE_St5arrayIPcLm2EEEEviT0_T1_
	.p2align	8
	.type	_ZN2at6native29vectorized_elementwise_kernelILi8EZZZNS0_12_GLOBAL__N_121bessel_y1_kernel_cudaERNS_18TensorIteratorBaseEENKUlvE_clEvENKUlvE_clEvEUldE_St5arrayIPcLm2EEEEviT0_T1_,@function
_ZN2at6native29vectorized_elementwise_kernelILi8EZZZNS0_12_GLOBAL__N_121bessel_y1_kernel_cudaERNS_18TensorIteratorBaseEENKUlvE_clEvENKUlvE_clEvEUldE_St5arrayIPcLm2EEEEviT0_T1_: ; @_ZN2at6native29vectorized_elementwise_kernelILi8EZZZNS0_12_GLOBAL__N_121bessel_y1_kernel_cudaERNS_18TensorIteratorBaseEENKUlvE_clEvENKUlvE_clEvEUldE_St5arrayIPcLm2EEEEviT0_T1_
; %bb.0:
	s_mov_b32 s33, s6
	s_clause 0x1
	s_load_dword s6, s[4:5], 0x0
	s_load_dwordx4 s[36:39], s[4:5], 0x8
	s_add_u32 s0, s0, s7
	s_addc_u32 s1, s1, 0
	s_lshl_b32 s4, s33, 10
	v_mov_b32_e32 v40, v0
	s_mov_b32 s32, 0
	s_waitcnt lgkmcnt(0)
	s_sub_i32 s34, s6, s4
	s_mov_b32 s4, -1
	s_cmpk_gt_i32 s34, 0x3ff
	s_cbranch_scc1 .LBB3_3
; %bb.1:
	s_andn2_b32 vcc_lo, exec_lo, s4
	s_cbranch_vccz .LBB3_4
.LBB3_2:
	s_endpgm
.LBB3_3:
	v_mov_b32_e32 v31, v40
	v_mov_b32_e32 v0, s36
	;; [unrolled: 1-line block ×5, first 2 shown]
	s_getpc_b64 s[4:5]
	s_add_u32 s4, s4, _ZN2at6native25elementwise_kernel_helperILb0EZZZNS0_12_GLOBAL__N_121bessel_y1_kernel_cudaERNS_18TensorIteratorBaseEENKUlvE_clEvENKUlvE_clEvEUldE_NS0_6memory8policies10vectorizedILi4ESt5arrayIPcLm2EELi4EEEEEvT0_T1_@rel32@lo+4
	s_addc_u32 s5, s5, _ZN2at6native25elementwise_kernel_helperILb0EZZZNS0_12_GLOBAL__N_121bessel_y1_kernel_cudaERNS_18TensorIteratorBaseEENKUlvE_clEvENKUlvE_clEvEUldE_NS0_6memory8policies10vectorizedILi4ESt5arrayIPcLm2EELi4EEEEEvT0_T1_@rel32@hi+12
	s_mov_b32 s12, s33
	s_swappc_b64 s[30:31], s[4:5]
	s_cbranch_execnz .LBB3_2
.LBB3_4:
	v_mov_b32_e32 v31, v40
	v_mov_b32_e32 v0, s36
	;; [unrolled: 1-line block ×6, first 2 shown]
	s_getpc_b64 s[4:5]
	s_add_u32 s4, s4, _ZN2at6native25elementwise_kernel_helperILb0EZZZNS0_12_GLOBAL__N_121bessel_y1_kernel_cudaERNS_18TensorIteratorBaseEENKUlvE_clEvENKUlvE_clEvEUldE_NS0_6memory8policies11unroll_baseILi256ESt5arrayIPcLm2EE23TrivialOffsetCalculatorILi1EjESF_NS8_15LoadWithoutCastENS8_16StoreWithoutCastELi4ELi1EEEEEvT0_T1_@rel32@lo+4
	s_addc_u32 s5, s5, _ZN2at6native25elementwise_kernel_helperILb0EZZZNS0_12_GLOBAL__N_121bessel_y1_kernel_cudaERNS_18TensorIteratorBaseEENKUlvE_clEvENKUlvE_clEvEUldE_NS0_6memory8policies11unroll_baseILi256ESt5arrayIPcLm2EE23TrivialOffsetCalculatorILi1EjESF_NS8_15LoadWithoutCastENS8_16StoreWithoutCastELi4ELi1EEEEEvT0_T1_@rel32@hi+12
	s_mov_b32 s12, s33
	s_swappc_b64 s[30:31], s[4:5]
	s_endpgm
	.section	.rodata,"a",@progbits
	.p2align	6, 0x0
	.amdhsa_kernel _ZN2at6native29vectorized_elementwise_kernelILi8EZZZNS0_12_GLOBAL__N_121bessel_y1_kernel_cudaERNS_18TensorIteratorBaseEENKUlvE_clEvENKUlvE_clEvEUldE_St5arrayIPcLm2EEEEviT0_T1_
		.amdhsa_group_segment_fixed_size 0
		.amdhsa_private_segment_fixed_size 0
		.amdhsa_kernarg_size 24
		.amdhsa_user_sgpr_count 6
		.amdhsa_user_sgpr_private_segment_buffer 1
		.amdhsa_user_sgpr_dispatch_ptr 0
		.amdhsa_user_sgpr_queue_ptr 0
		.amdhsa_user_sgpr_kernarg_segment_ptr 1
		.amdhsa_user_sgpr_dispatch_id 0
		.amdhsa_user_sgpr_flat_scratch_init 0
		.amdhsa_user_sgpr_private_segment_size 0
		.amdhsa_wavefront_size32 1
		.amdhsa_uses_dynamic_stack 0
		.amdhsa_system_sgpr_private_segment_wavefront_offset 0
		.amdhsa_system_sgpr_workgroup_id_x 1
		.amdhsa_system_sgpr_workgroup_id_y 0
		.amdhsa_system_sgpr_workgroup_id_z 0
		.amdhsa_system_sgpr_workgroup_info 0
		.amdhsa_system_vgpr_workitem_id 0
		.amdhsa_next_free_vgpr 84
		.amdhsa_next_free_sgpr 43
		.amdhsa_reserve_vcc 1
		.amdhsa_reserve_flat_scratch 1
		.amdhsa_float_round_mode_32 0
		.amdhsa_float_round_mode_16_64 0
		.amdhsa_float_denorm_mode_32 3
		.amdhsa_float_denorm_mode_16_64 3
		.amdhsa_dx10_clamp 1
		.amdhsa_ieee_mode 1
		.amdhsa_fp16_overflow 0
		.amdhsa_workgroup_processor_mode 1
		.amdhsa_memory_ordered 1
		.amdhsa_forward_progress 1
		.amdhsa_shared_vgpr_count 0
		.amdhsa_exception_fp_ieee_invalid_op 0
		.amdhsa_exception_fp_denorm_src 0
		.amdhsa_exception_fp_ieee_div_zero 0
		.amdhsa_exception_fp_ieee_overflow 0
		.amdhsa_exception_fp_ieee_underflow 0
		.amdhsa_exception_fp_ieee_inexact 0
		.amdhsa_exception_int_div_zero 0
	.end_amdhsa_kernel
	.section	.text._ZN2at6native29vectorized_elementwise_kernelILi8EZZZNS0_12_GLOBAL__N_121bessel_y1_kernel_cudaERNS_18TensorIteratorBaseEENKUlvE_clEvENKUlvE_clEvEUldE_St5arrayIPcLm2EEEEviT0_T1_,"axG",@progbits,_ZN2at6native29vectorized_elementwise_kernelILi8EZZZNS0_12_GLOBAL__N_121bessel_y1_kernel_cudaERNS_18TensorIteratorBaseEENKUlvE_clEvENKUlvE_clEvEUldE_St5arrayIPcLm2EEEEviT0_T1_,comdat
.Lfunc_end3:
	.size	_ZN2at6native29vectorized_elementwise_kernelILi8EZZZNS0_12_GLOBAL__N_121bessel_y1_kernel_cudaERNS_18TensorIteratorBaseEENKUlvE_clEvENKUlvE_clEvEUldE_St5arrayIPcLm2EEEEviT0_T1_, .Lfunc_end3-_ZN2at6native29vectorized_elementwise_kernelILi8EZZZNS0_12_GLOBAL__N_121bessel_y1_kernel_cudaERNS_18TensorIteratorBaseEENKUlvE_clEvENKUlvE_clEvEUldE_St5arrayIPcLm2EEEEviT0_T1_
                                        ; -- End function
	.set _ZN2at6native29vectorized_elementwise_kernelILi8EZZZNS0_12_GLOBAL__N_121bessel_y1_kernel_cudaERNS_18TensorIteratorBaseEENKUlvE_clEvENKUlvE_clEvEUldE_St5arrayIPcLm2EEEEviT0_T1_.num_vgpr, max(41, .L_ZN2at6native25elementwise_kernel_helperILb0EZZZNS0_12_GLOBAL__N_121bessel_y1_kernel_cudaERNS_18TensorIteratorBaseEENKUlvE_clEvENKUlvE_clEvEUldE_NS0_6memory8policies10vectorizedILi4ESt5arrayIPcLm2EELi4EEEEEvT0_T1_.num_vgpr, .L_ZN2at6native25elementwise_kernel_helperILb0EZZZNS0_12_GLOBAL__N_121bessel_y1_kernel_cudaERNS_18TensorIteratorBaseEENKUlvE_clEvENKUlvE_clEvEUldE_NS0_6memory8policies11unroll_baseILi256ESt5arrayIPcLm2EE23TrivialOffsetCalculatorILi1EjESF_NS8_15LoadWithoutCastENS8_16StoreWithoutCastELi4ELi1EEEEEvT0_T1_.num_vgpr)
	.set _ZN2at6native29vectorized_elementwise_kernelILi8EZZZNS0_12_GLOBAL__N_121bessel_y1_kernel_cudaERNS_18TensorIteratorBaseEENKUlvE_clEvENKUlvE_clEvEUldE_St5arrayIPcLm2EEEEviT0_T1_.num_agpr, max(0, .L_ZN2at6native25elementwise_kernel_helperILb0EZZZNS0_12_GLOBAL__N_121bessel_y1_kernel_cudaERNS_18TensorIteratorBaseEENKUlvE_clEvENKUlvE_clEvEUldE_NS0_6memory8policies10vectorizedILi4ESt5arrayIPcLm2EELi4EEEEEvT0_T1_.num_agpr, .L_ZN2at6native25elementwise_kernel_helperILb0EZZZNS0_12_GLOBAL__N_121bessel_y1_kernel_cudaERNS_18TensorIteratorBaseEENKUlvE_clEvENKUlvE_clEvEUldE_NS0_6memory8policies11unroll_baseILi256ESt5arrayIPcLm2EE23TrivialOffsetCalculatorILi1EjESF_NS8_15LoadWithoutCastENS8_16StoreWithoutCastELi4ELi1EEEEEvT0_T1_.num_agpr)
	.set _ZN2at6native29vectorized_elementwise_kernelILi8EZZZNS0_12_GLOBAL__N_121bessel_y1_kernel_cudaERNS_18TensorIteratorBaseEENKUlvE_clEvENKUlvE_clEvEUldE_St5arrayIPcLm2EEEEviT0_T1_.numbered_sgpr, max(40, .L_ZN2at6native25elementwise_kernel_helperILb0EZZZNS0_12_GLOBAL__N_121bessel_y1_kernel_cudaERNS_18TensorIteratorBaseEENKUlvE_clEvENKUlvE_clEvEUldE_NS0_6memory8policies10vectorizedILi4ESt5arrayIPcLm2EELi4EEEEEvT0_T1_.numbered_sgpr, .L_ZN2at6native25elementwise_kernel_helperILb0EZZZNS0_12_GLOBAL__N_121bessel_y1_kernel_cudaERNS_18TensorIteratorBaseEENKUlvE_clEvENKUlvE_clEvEUldE_NS0_6memory8policies11unroll_baseILi256ESt5arrayIPcLm2EE23TrivialOffsetCalculatorILi1EjESF_NS8_15LoadWithoutCastENS8_16StoreWithoutCastELi4ELi1EEEEEvT0_T1_.numbered_sgpr)
	.set _ZN2at6native29vectorized_elementwise_kernelILi8EZZZNS0_12_GLOBAL__N_121bessel_y1_kernel_cudaERNS_18TensorIteratorBaseEENKUlvE_clEvENKUlvE_clEvEUldE_St5arrayIPcLm2EEEEviT0_T1_.num_named_barrier, max(0, .L_ZN2at6native25elementwise_kernel_helperILb0EZZZNS0_12_GLOBAL__N_121bessel_y1_kernel_cudaERNS_18TensorIteratorBaseEENKUlvE_clEvENKUlvE_clEvEUldE_NS0_6memory8policies10vectorizedILi4ESt5arrayIPcLm2EELi4EEEEEvT0_T1_.num_named_barrier, .L_ZN2at6native25elementwise_kernel_helperILb0EZZZNS0_12_GLOBAL__N_121bessel_y1_kernel_cudaERNS_18TensorIteratorBaseEENKUlvE_clEvENKUlvE_clEvEUldE_NS0_6memory8policies11unroll_baseILi256ESt5arrayIPcLm2EE23TrivialOffsetCalculatorILi1EjESF_NS8_15LoadWithoutCastENS8_16StoreWithoutCastELi4ELi1EEEEEvT0_T1_.num_named_barrier)
	.set _ZN2at6native29vectorized_elementwise_kernelILi8EZZZNS0_12_GLOBAL__N_121bessel_y1_kernel_cudaERNS_18TensorIteratorBaseEENKUlvE_clEvENKUlvE_clEvEUldE_St5arrayIPcLm2EEEEviT0_T1_.private_seg_size, 0+max(.L_ZN2at6native25elementwise_kernel_helperILb0EZZZNS0_12_GLOBAL__N_121bessel_y1_kernel_cudaERNS_18TensorIteratorBaseEENKUlvE_clEvENKUlvE_clEvEUldE_NS0_6memory8policies10vectorizedILi4ESt5arrayIPcLm2EELi4EEEEEvT0_T1_.private_seg_size, .L_ZN2at6native25elementwise_kernel_helperILb0EZZZNS0_12_GLOBAL__N_121bessel_y1_kernel_cudaERNS_18TensorIteratorBaseEENKUlvE_clEvENKUlvE_clEvEUldE_NS0_6memory8policies11unroll_baseILi256ESt5arrayIPcLm2EE23TrivialOffsetCalculatorILi1EjESF_NS8_15LoadWithoutCastENS8_16StoreWithoutCastELi4ELi1EEEEEvT0_T1_.private_seg_size)
	.set _ZN2at6native29vectorized_elementwise_kernelILi8EZZZNS0_12_GLOBAL__N_121bessel_y1_kernel_cudaERNS_18TensorIteratorBaseEENKUlvE_clEvENKUlvE_clEvEUldE_St5arrayIPcLm2EEEEviT0_T1_.uses_vcc, or(1, .L_ZN2at6native25elementwise_kernel_helperILb0EZZZNS0_12_GLOBAL__N_121bessel_y1_kernel_cudaERNS_18TensorIteratorBaseEENKUlvE_clEvENKUlvE_clEvEUldE_NS0_6memory8policies10vectorizedILi4ESt5arrayIPcLm2EELi4EEEEEvT0_T1_.uses_vcc, .L_ZN2at6native25elementwise_kernel_helperILb0EZZZNS0_12_GLOBAL__N_121bessel_y1_kernel_cudaERNS_18TensorIteratorBaseEENKUlvE_clEvENKUlvE_clEvEUldE_NS0_6memory8policies11unroll_baseILi256ESt5arrayIPcLm2EE23TrivialOffsetCalculatorILi1EjESF_NS8_15LoadWithoutCastENS8_16StoreWithoutCastELi4ELi1EEEEEvT0_T1_.uses_vcc)
	.set _ZN2at6native29vectorized_elementwise_kernelILi8EZZZNS0_12_GLOBAL__N_121bessel_y1_kernel_cudaERNS_18TensorIteratorBaseEENKUlvE_clEvENKUlvE_clEvEUldE_St5arrayIPcLm2EEEEviT0_T1_.uses_flat_scratch, or(0, .L_ZN2at6native25elementwise_kernel_helperILb0EZZZNS0_12_GLOBAL__N_121bessel_y1_kernel_cudaERNS_18TensorIteratorBaseEENKUlvE_clEvENKUlvE_clEvEUldE_NS0_6memory8policies10vectorizedILi4ESt5arrayIPcLm2EELi4EEEEEvT0_T1_.uses_flat_scratch, .L_ZN2at6native25elementwise_kernel_helperILb0EZZZNS0_12_GLOBAL__N_121bessel_y1_kernel_cudaERNS_18TensorIteratorBaseEENKUlvE_clEvENKUlvE_clEvEUldE_NS0_6memory8policies11unroll_baseILi256ESt5arrayIPcLm2EE23TrivialOffsetCalculatorILi1EjESF_NS8_15LoadWithoutCastENS8_16StoreWithoutCastELi4ELi1EEEEEvT0_T1_.uses_flat_scratch)
	.set _ZN2at6native29vectorized_elementwise_kernelILi8EZZZNS0_12_GLOBAL__N_121bessel_y1_kernel_cudaERNS_18TensorIteratorBaseEENKUlvE_clEvENKUlvE_clEvEUldE_St5arrayIPcLm2EEEEviT0_T1_.has_dyn_sized_stack, or(0, .L_ZN2at6native25elementwise_kernel_helperILb0EZZZNS0_12_GLOBAL__N_121bessel_y1_kernel_cudaERNS_18TensorIteratorBaseEENKUlvE_clEvENKUlvE_clEvEUldE_NS0_6memory8policies10vectorizedILi4ESt5arrayIPcLm2EELi4EEEEEvT0_T1_.has_dyn_sized_stack, .L_ZN2at6native25elementwise_kernel_helperILb0EZZZNS0_12_GLOBAL__N_121bessel_y1_kernel_cudaERNS_18TensorIteratorBaseEENKUlvE_clEvENKUlvE_clEvEUldE_NS0_6memory8policies11unroll_baseILi256ESt5arrayIPcLm2EE23TrivialOffsetCalculatorILi1EjESF_NS8_15LoadWithoutCastENS8_16StoreWithoutCastELi4ELi1EEEEEvT0_T1_.has_dyn_sized_stack)
	.set _ZN2at6native29vectorized_elementwise_kernelILi8EZZZNS0_12_GLOBAL__N_121bessel_y1_kernel_cudaERNS_18TensorIteratorBaseEENKUlvE_clEvENKUlvE_clEvEUldE_St5arrayIPcLm2EEEEviT0_T1_.has_recursion, or(0, .L_ZN2at6native25elementwise_kernel_helperILb0EZZZNS0_12_GLOBAL__N_121bessel_y1_kernel_cudaERNS_18TensorIteratorBaseEENKUlvE_clEvENKUlvE_clEvEUldE_NS0_6memory8policies10vectorizedILi4ESt5arrayIPcLm2EELi4EEEEEvT0_T1_.has_recursion, .L_ZN2at6native25elementwise_kernel_helperILb0EZZZNS0_12_GLOBAL__N_121bessel_y1_kernel_cudaERNS_18TensorIteratorBaseEENKUlvE_clEvENKUlvE_clEvEUldE_NS0_6memory8policies11unroll_baseILi256ESt5arrayIPcLm2EE23TrivialOffsetCalculatorILi1EjESF_NS8_15LoadWithoutCastENS8_16StoreWithoutCastELi4ELi1EEEEEvT0_T1_.has_recursion)
	.set _ZN2at6native29vectorized_elementwise_kernelILi8EZZZNS0_12_GLOBAL__N_121bessel_y1_kernel_cudaERNS_18TensorIteratorBaseEENKUlvE_clEvENKUlvE_clEvEUldE_St5arrayIPcLm2EEEEviT0_T1_.has_indirect_call, or(0, .L_ZN2at6native25elementwise_kernel_helperILb0EZZZNS0_12_GLOBAL__N_121bessel_y1_kernel_cudaERNS_18TensorIteratorBaseEENKUlvE_clEvENKUlvE_clEvEUldE_NS0_6memory8policies10vectorizedILi4ESt5arrayIPcLm2EELi4EEEEEvT0_T1_.has_indirect_call, .L_ZN2at6native25elementwise_kernel_helperILb0EZZZNS0_12_GLOBAL__N_121bessel_y1_kernel_cudaERNS_18TensorIteratorBaseEENKUlvE_clEvENKUlvE_clEvEUldE_NS0_6memory8policies11unroll_baseILi256ESt5arrayIPcLm2EE23TrivialOffsetCalculatorILi1EjESF_NS8_15LoadWithoutCastENS8_16StoreWithoutCastELi4ELi1EEEEEvT0_T1_.has_indirect_call)
	.section	.AMDGPU.csdata,"",@progbits
; Kernel info:
; codeLenInByte = 184
; TotalNumSgprs: 45
; NumVgprs: 84
; ScratchSize: 0
; MemoryBound: 0
; FloatMode: 240
; IeeeMode: 1
; LDSByteSize: 0 bytes/workgroup (compile time only)
; SGPRBlocks: 0
; VGPRBlocks: 10
; NumSGPRsForWavesPerEU: 45
; NumVGPRsForWavesPerEU: 84
; Occupancy: 10
; WaveLimiterHint : 0
; COMPUTE_PGM_RSRC2:SCRATCH_EN: 0
; COMPUTE_PGM_RSRC2:USER_SGPR: 6
; COMPUTE_PGM_RSRC2:TRAP_HANDLER: 0
; COMPUTE_PGM_RSRC2:TGID_X_EN: 1
; COMPUTE_PGM_RSRC2:TGID_Y_EN: 0
; COMPUTE_PGM_RSRC2:TGID_Z_EN: 0
; COMPUTE_PGM_RSRC2:TIDIG_COMP_CNT: 0
	.section	.text._ZN2at6native29vectorized_elementwise_kernelILi4EZZZNS0_12_GLOBAL__N_121bessel_y1_kernel_cudaERNS_18TensorIteratorBaseEENKUlvE_clEvENKUlvE_clEvEUldE_St5arrayIPcLm2EEEEviT0_T1_,"axG",@progbits,_ZN2at6native29vectorized_elementwise_kernelILi4EZZZNS0_12_GLOBAL__N_121bessel_y1_kernel_cudaERNS_18TensorIteratorBaseEENKUlvE_clEvENKUlvE_clEvEUldE_St5arrayIPcLm2EEEEviT0_T1_,comdat
	.globl	_ZN2at6native29vectorized_elementwise_kernelILi4EZZZNS0_12_GLOBAL__N_121bessel_y1_kernel_cudaERNS_18TensorIteratorBaseEENKUlvE_clEvENKUlvE_clEvEUldE_St5arrayIPcLm2EEEEviT0_T1_ ; -- Begin function _ZN2at6native29vectorized_elementwise_kernelILi4EZZZNS0_12_GLOBAL__N_121bessel_y1_kernel_cudaERNS_18TensorIteratorBaseEENKUlvE_clEvENKUlvE_clEvEUldE_St5arrayIPcLm2EEEEviT0_T1_
	.p2align	8
	.type	_ZN2at6native29vectorized_elementwise_kernelILi4EZZZNS0_12_GLOBAL__N_121bessel_y1_kernel_cudaERNS_18TensorIteratorBaseEENKUlvE_clEvENKUlvE_clEvEUldE_St5arrayIPcLm2EEEEviT0_T1_,@function
_ZN2at6native29vectorized_elementwise_kernelILi4EZZZNS0_12_GLOBAL__N_121bessel_y1_kernel_cudaERNS_18TensorIteratorBaseEENKUlvE_clEvENKUlvE_clEvEUldE_St5arrayIPcLm2EEEEviT0_T1_: ; @_ZN2at6native29vectorized_elementwise_kernelILi4EZZZNS0_12_GLOBAL__N_121bessel_y1_kernel_cudaERNS_18TensorIteratorBaseEENKUlvE_clEvENKUlvE_clEvEUldE_St5arrayIPcLm2EEEEviT0_T1_
; %bb.0:
	s_mov_b32 s33, s6
	s_clause 0x1
	s_load_dword s6, s[4:5], 0x0
	s_load_dwordx4 s[36:39], s[4:5], 0x8
	s_add_u32 s0, s0, s7
	s_addc_u32 s1, s1, 0
	s_lshl_b32 s4, s33, 10
	v_mov_b32_e32 v40, v0
	s_mov_b32 s32, 0
	s_waitcnt lgkmcnt(0)
	s_sub_i32 s34, s6, s4
	s_mov_b32 s4, -1
	s_cmpk_gt_i32 s34, 0x3ff
	s_cbranch_scc1 .LBB4_3
; %bb.1:
	s_andn2_b32 vcc_lo, exec_lo, s4
	s_cbranch_vccz .LBB4_4
.LBB4_2:
	s_endpgm
.LBB4_3:
	v_mov_b32_e32 v31, v40
	v_mov_b32_e32 v0, s36
	;; [unrolled: 1-line block ×5, first 2 shown]
	s_getpc_b64 s[4:5]
	s_add_u32 s4, s4, _ZN2at6native25elementwise_kernel_helperILb0EZZZNS0_12_GLOBAL__N_121bessel_y1_kernel_cudaERNS_18TensorIteratorBaseEENKUlvE_clEvENKUlvE_clEvEUldE_NS0_6memory8policies10vectorizedILi4ESt5arrayIPcLm2EELi4EEEEEvT0_T1_@rel32@lo+4
	s_addc_u32 s5, s5, _ZN2at6native25elementwise_kernel_helperILb0EZZZNS0_12_GLOBAL__N_121bessel_y1_kernel_cudaERNS_18TensorIteratorBaseEENKUlvE_clEvENKUlvE_clEvEUldE_NS0_6memory8policies10vectorizedILi4ESt5arrayIPcLm2EELi4EEEEEvT0_T1_@rel32@hi+12
	s_mov_b32 s12, s33
	s_swappc_b64 s[30:31], s[4:5]
	s_cbranch_execnz .LBB4_2
.LBB4_4:
	v_mov_b32_e32 v31, v40
	v_mov_b32_e32 v0, s36
	;; [unrolled: 1-line block ×6, first 2 shown]
	s_getpc_b64 s[4:5]
	s_add_u32 s4, s4, _ZN2at6native25elementwise_kernel_helperILb0EZZZNS0_12_GLOBAL__N_121bessel_y1_kernel_cudaERNS_18TensorIteratorBaseEENKUlvE_clEvENKUlvE_clEvEUldE_NS0_6memory8policies11unroll_baseILi256ESt5arrayIPcLm2EE23TrivialOffsetCalculatorILi1EjESF_NS8_15LoadWithoutCastENS8_16StoreWithoutCastELi4ELi1EEEEEvT0_T1_@rel32@lo+4
	s_addc_u32 s5, s5, _ZN2at6native25elementwise_kernel_helperILb0EZZZNS0_12_GLOBAL__N_121bessel_y1_kernel_cudaERNS_18TensorIteratorBaseEENKUlvE_clEvENKUlvE_clEvEUldE_NS0_6memory8policies11unroll_baseILi256ESt5arrayIPcLm2EE23TrivialOffsetCalculatorILi1EjESF_NS8_15LoadWithoutCastENS8_16StoreWithoutCastELi4ELi1EEEEEvT0_T1_@rel32@hi+12
	s_mov_b32 s12, s33
	s_swappc_b64 s[30:31], s[4:5]
	s_endpgm
	.section	.rodata,"a",@progbits
	.p2align	6, 0x0
	.amdhsa_kernel _ZN2at6native29vectorized_elementwise_kernelILi4EZZZNS0_12_GLOBAL__N_121bessel_y1_kernel_cudaERNS_18TensorIteratorBaseEENKUlvE_clEvENKUlvE_clEvEUldE_St5arrayIPcLm2EEEEviT0_T1_
		.amdhsa_group_segment_fixed_size 0
		.amdhsa_private_segment_fixed_size 0
		.amdhsa_kernarg_size 24
		.amdhsa_user_sgpr_count 6
		.amdhsa_user_sgpr_private_segment_buffer 1
		.amdhsa_user_sgpr_dispatch_ptr 0
		.amdhsa_user_sgpr_queue_ptr 0
		.amdhsa_user_sgpr_kernarg_segment_ptr 1
		.amdhsa_user_sgpr_dispatch_id 0
		.amdhsa_user_sgpr_flat_scratch_init 0
		.amdhsa_user_sgpr_private_segment_size 0
		.amdhsa_wavefront_size32 1
		.amdhsa_uses_dynamic_stack 0
		.amdhsa_system_sgpr_private_segment_wavefront_offset 0
		.amdhsa_system_sgpr_workgroup_id_x 1
		.amdhsa_system_sgpr_workgroup_id_y 0
		.amdhsa_system_sgpr_workgroup_id_z 0
		.amdhsa_system_sgpr_workgroup_info 0
		.amdhsa_system_vgpr_workitem_id 0
		.amdhsa_next_free_vgpr 84
		.amdhsa_next_free_sgpr 43
		.amdhsa_reserve_vcc 1
		.amdhsa_reserve_flat_scratch 1
		.amdhsa_float_round_mode_32 0
		.amdhsa_float_round_mode_16_64 0
		.amdhsa_float_denorm_mode_32 3
		.amdhsa_float_denorm_mode_16_64 3
		.amdhsa_dx10_clamp 1
		.amdhsa_ieee_mode 1
		.amdhsa_fp16_overflow 0
		.amdhsa_workgroup_processor_mode 1
		.amdhsa_memory_ordered 1
		.amdhsa_forward_progress 1
		.amdhsa_shared_vgpr_count 0
		.amdhsa_exception_fp_ieee_invalid_op 0
		.amdhsa_exception_fp_denorm_src 0
		.amdhsa_exception_fp_ieee_div_zero 0
		.amdhsa_exception_fp_ieee_overflow 0
		.amdhsa_exception_fp_ieee_underflow 0
		.amdhsa_exception_fp_ieee_inexact 0
		.amdhsa_exception_int_div_zero 0
	.end_amdhsa_kernel
	.section	.text._ZN2at6native29vectorized_elementwise_kernelILi4EZZZNS0_12_GLOBAL__N_121bessel_y1_kernel_cudaERNS_18TensorIteratorBaseEENKUlvE_clEvENKUlvE_clEvEUldE_St5arrayIPcLm2EEEEviT0_T1_,"axG",@progbits,_ZN2at6native29vectorized_elementwise_kernelILi4EZZZNS0_12_GLOBAL__N_121bessel_y1_kernel_cudaERNS_18TensorIteratorBaseEENKUlvE_clEvENKUlvE_clEvEUldE_St5arrayIPcLm2EEEEviT0_T1_,comdat
.Lfunc_end4:
	.size	_ZN2at6native29vectorized_elementwise_kernelILi4EZZZNS0_12_GLOBAL__N_121bessel_y1_kernel_cudaERNS_18TensorIteratorBaseEENKUlvE_clEvENKUlvE_clEvEUldE_St5arrayIPcLm2EEEEviT0_T1_, .Lfunc_end4-_ZN2at6native29vectorized_elementwise_kernelILi4EZZZNS0_12_GLOBAL__N_121bessel_y1_kernel_cudaERNS_18TensorIteratorBaseEENKUlvE_clEvENKUlvE_clEvEUldE_St5arrayIPcLm2EEEEviT0_T1_
                                        ; -- End function
	.set _ZN2at6native29vectorized_elementwise_kernelILi4EZZZNS0_12_GLOBAL__N_121bessel_y1_kernel_cudaERNS_18TensorIteratorBaseEENKUlvE_clEvENKUlvE_clEvEUldE_St5arrayIPcLm2EEEEviT0_T1_.num_vgpr, max(41, .L_ZN2at6native25elementwise_kernel_helperILb0EZZZNS0_12_GLOBAL__N_121bessel_y1_kernel_cudaERNS_18TensorIteratorBaseEENKUlvE_clEvENKUlvE_clEvEUldE_NS0_6memory8policies10vectorizedILi4ESt5arrayIPcLm2EELi4EEEEEvT0_T1_.num_vgpr, .L_ZN2at6native25elementwise_kernel_helperILb0EZZZNS0_12_GLOBAL__N_121bessel_y1_kernel_cudaERNS_18TensorIteratorBaseEENKUlvE_clEvENKUlvE_clEvEUldE_NS0_6memory8policies11unroll_baseILi256ESt5arrayIPcLm2EE23TrivialOffsetCalculatorILi1EjESF_NS8_15LoadWithoutCastENS8_16StoreWithoutCastELi4ELi1EEEEEvT0_T1_.num_vgpr)
	.set _ZN2at6native29vectorized_elementwise_kernelILi4EZZZNS0_12_GLOBAL__N_121bessel_y1_kernel_cudaERNS_18TensorIteratorBaseEENKUlvE_clEvENKUlvE_clEvEUldE_St5arrayIPcLm2EEEEviT0_T1_.num_agpr, max(0, .L_ZN2at6native25elementwise_kernel_helperILb0EZZZNS0_12_GLOBAL__N_121bessel_y1_kernel_cudaERNS_18TensorIteratorBaseEENKUlvE_clEvENKUlvE_clEvEUldE_NS0_6memory8policies10vectorizedILi4ESt5arrayIPcLm2EELi4EEEEEvT0_T1_.num_agpr, .L_ZN2at6native25elementwise_kernel_helperILb0EZZZNS0_12_GLOBAL__N_121bessel_y1_kernel_cudaERNS_18TensorIteratorBaseEENKUlvE_clEvENKUlvE_clEvEUldE_NS0_6memory8policies11unroll_baseILi256ESt5arrayIPcLm2EE23TrivialOffsetCalculatorILi1EjESF_NS8_15LoadWithoutCastENS8_16StoreWithoutCastELi4ELi1EEEEEvT0_T1_.num_agpr)
	.set _ZN2at6native29vectorized_elementwise_kernelILi4EZZZNS0_12_GLOBAL__N_121bessel_y1_kernel_cudaERNS_18TensorIteratorBaseEENKUlvE_clEvENKUlvE_clEvEUldE_St5arrayIPcLm2EEEEviT0_T1_.numbered_sgpr, max(40, .L_ZN2at6native25elementwise_kernel_helperILb0EZZZNS0_12_GLOBAL__N_121bessel_y1_kernel_cudaERNS_18TensorIteratorBaseEENKUlvE_clEvENKUlvE_clEvEUldE_NS0_6memory8policies10vectorizedILi4ESt5arrayIPcLm2EELi4EEEEEvT0_T1_.numbered_sgpr, .L_ZN2at6native25elementwise_kernel_helperILb0EZZZNS0_12_GLOBAL__N_121bessel_y1_kernel_cudaERNS_18TensorIteratorBaseEENKUlvE_clEvENKUlvE_clEvEUldE_NS0_6memory8policies11unroll_baseILi256ESt5arrayIPcLm2EE23TrivialOffsetCalculatorILi1EjESF_NS8_15LoadWithoutCastENS8_16StoreWithoutCastELi4ELi1EEEEEvT0_T1_.numbered_sgpr)
	.set _ZN2at6native29vectorized_elementwise_kernelILi4EZZZNS0_12_GLOBAL__N_121bessel_y1_kernel_cudaERNS_18TensorIteratorBaseEENKUlvE_clEvENKUlvE_clEvEUldE_St5arrayIPcLm2EEEEviT0_T1_.num_named_barrier, max(0, .L_ZN2at6native25elementwise_kernel_helperILb0EZZZNS0_12_GLOBAL__N_121bessel_y1_kernel_cudaERNS_18TensorIteratorBaseEENKUlvE_clEvENKUlvE_clEvEUldE_NS0_6memory8policies10vectorizedILi4ESt5arrayIPcLm2EELi4EEEEEvT0_T1_.num_named_barrier, .L_ZN2at6native25elementwise_kernel_helperILb0EZZZNS0_12_GLOBAL__N_121bessel_y1_kernel_cudaERNS_18TensorIteratorBaseEENKUlvE_clEvENKUlvE_clEvEUldE_NS0_6memory8policies11unroll_baseILi256ESt5arrayIPcLm2EE23TrivialOffsetCalculatorILi1EjESF_NS8_15LoadWithoutCastENS8_16StoreWithoutCastELi4ELi1EEEEEvT0_T1_.num_named_barrier)
	.set _ZN2at6native29vectorized_elementwise_kernelILi4EZZZNS0_12_GLOBAL__N_121bessel_y1_kernel_cudaERNS_18TensorIteratorBaseEENKUlvE_clEvENKUlvE_clEvEUldE_St5arrayIPcLm2EEEEviT0_T1_.private_seg_size, 0+max(.L_ZN2at6native25elementwise_kernel_helperILb0EZZZNS0_12_GLOBAL__N_121bessel_y1_kernel_cudaERNS_18TensorIteratorBaseEENKUlvE_clEvENKUlvE_clEvEUldE_NS0_6memory8policies10vectorizedILi4ESt5arrayIPcLm2EELi4EEEEEvT0_T1_.private_seg_size, .L_ZN2at6native25elementwise_kernel_helperILb0EZZZNS0_12_GLOBAL__N_121bessel_y1_kernel_cudaERNS_18TensorIteratorBaseEENKUlvE_clEvENKUlvE_clEvEUldE_NS0_6memory8policies11unroll_baseILi256ESt5arrayIPcLm2EE23TrivialOffsetCalculatorILi1EjESF_NS8_15LoadWithoutCastENS8_16StoreWithoutCastELi4ELi1EEEEEvT0_T1_.private_seg_size)
	.set _ZN2at6native29vectorized_elementwise_kernelILi4EZZZNS0_12_GLOBAL__N_121bessel_y1_kernel_cudaERNS_18TensorIteratorBaseEENKUlvE_clEvENKUlvE_clEvEUldE_St5arrayIPcLm2EEEEviT0_T1_.uses_vcc, or(1, .L_ZN2at6native25elementwise_kernel_helperILb0EZZZNS0_12_GLOBAL__N_121bessel_y1_kernel_cudaERNS_18TensorIteratorBaseEENKUlvE_clEvENKUlvE_clEvEUldE_NS0_6memory8policies10vectorizedILi4ESt5arrayIPcLm2EELi4EEEEEvT0_T1_.uses_vcc, .L_ZN2at6native25elementwise_kernel_helperILb0EZZZNS0_12_GLOBAL__N_121bessel_y1_kernel_cudaERNS_18TensorIteratorBaseEENKUlvE_clEvENKUlvE_clEvEUldE_NS0_6memory8policies11unroll_baseILi256ESt5arrayIPcLm2EE23TrivialOffsetCalculatorILi1EjESF_NS8_15LoadWithoutCastENS8_16StoreWithoutCastELi4ELi1EEEEEvT0_T1_.uses_vcc)
	.set _ZN2at6native29vectorized_elementwise_kernelILi4EZZZNS0_12_GLOBAL__N_121bessel_y1_kernel_cudaERNS_18TensorIteratorBaseEENKUlvE_clEvENKUlvE_clEvEUldE_St5arrayIPcLm2EEEEviT0_T1_.uses_flat_scratch, or(0, .L_ZN2at6native25elementwise_kernel_helperILb0EZZZNS0_12_GLOBAL__N_121bessel_y1_kernel_cudaERNS_18TensorIteratorBaseEENKUlvE_clEvENKUlvE_clEvEUldE_NS0_6memory8policies10vectorizedILi4ESt5arrayIPcLm2EELi4EEEEEvT0_T1_.uses_flat_scratch, .L_ZN2at6native25elementwise_kernel_helperILb0EZZZNS0_12_GLOBAL__N_121bessel_y1_kernel_cudaERNS_18TensorIteratorBaseEENKUlvE_clEvENKUlvE_clEvEUldE_NS0_6memory8policies11unroll_baseILi256ESt5arrayIPcLm2EE23TrivialOffsetCalculatorILi1EjESF_NS8_15LoadWithoutCastENS8_16StoreWithoutCastELi4ELi1EEEEEvT0_T1_.uses_flat_scratch)
	.set _ZN2at6native29vectorized_elementwise_kernelILi4EZZZNS0_12_GLOBAL__N_121bessel_y1_kernel_cudaERNS_18TensorIteratorBaseEENKUlvE_clEvENKUlvE_clEvEUldE_St5arrayIPcLm2EEEEviT0_T1_.has_dyn_sized_stack, or(0, .L_ZN2at6native25elementwise_kernel_helperILb0EZZZNS0_12_GLOBAL__N_121bessel_y1_kernel_cudaERNS_18TensorIteratorBaseEENKUlvE_clEvENKUlvE_clEvEUldE_NS0_6memory8policies10vectorizedILi4ESt5arrayIPcLm2EELi4EEEEEvT0_T1_.has_dyn_sized_stack, .L_ZN2at6native25elementwise_kernel_helperILb0EZZZNS0_12_GLOBAL__N_121bessel_y1_kernel_cudaERNS_18TensorIteratorBaseEENKUlvE_clEvENKUlvE_clEvEUldE_NS0_6memory8policies11unroll_baseILi256ESt5arrayIPcLm2EE23TrivialOffsetCalculatorILi1EjESF_NS8_15LoadWithoutCastENS8_16StoreWithoutCastELi4ELi1EEEEEvT0_T1_.has_dyn_sized_stack)
	.set _ZN2at6native29vectorized_elementwise_kernelILi4EZZZNS0_12_GLOBAL__N_121bessel_y1_kernel_cudaERNS_18TensorIteratorBaseEENKUlvE_clEvENKUlvE_clEvEUldE_St5arrayIPcLm2EEEEviT0_T1_.has_recursion, or(0, .L_ZN2at6native25elementwise_kernel_helperILb0EZZZNS0_12_GLOBAL__N_121bessel_y1_kernel_cudaERNS_18TensorIteratorBaseEENKUlvE_clEvENKUlvE_clEvEUldE_NS0_6memory8policies10vectorizedILi4ESt5arrayIPcLm2EELi4EEEEEvT0_T1_.has_recursion, .L_ZN2at6native25elementwise_kernel_helperILb0EZZZNS0_12_GLOBAL__N_121bessel_y1_kernel_cudaERNS_18TensorIteratorBaseEENKUlvE_clEvENKUlvE_clEvEUldE_NS0_6memory8policies11unroll_baseILi256ESt5arrayIPcLm2EE23TrivialOffsetCalculatorILi1EjESF_NS8_15LoadWithoutCastENS8_16StoreWithoutCastELi4ELi1EEEEEvT0_T1_.has_recursion)
	.set _ZN2at6native29vectorized_elementwise_kernelILi4EZZZNS0_12_GLOBAL__N_121bessel_y1_kernel_cudaERNS_18TensorIteratorBaseEENKUlvE_clEvENKUlvE_clEvEUldE_St5arrayIPcLm2EEEEviT0_T1_.has_indirect_call, or(0, .L_ZN2at6native25elementwise_kernel_helperILb0EZZZNS0_12_GLOBAL__N_121bessel_y1_kernel_cudaERNS_18TensorIteratorBaseEENKUlvE_clEvENKUlvE_clEvEUldE_NS0_6memory8policies10vectorizedILi4ESt5arrayIPcLm2EELi4EEEEEvT0_T1_.has_indirect_call, .L_ZN2at6native25elementwise_kernel_helperILb0EZZZNS0_12_GLOBAL__N_121bessel_y1_kernel_cudaERNS_18TensorIteratorBaseEENKUlvE_clEvENKUlvE_clEvEUldE_NS0_6memory8policies11unroll_baseILi256ESt5arrayIPcLm2EE23TrivialOffsetCalculatorILi1EjESF_NS8_15LoadWithoutCastENS8_16StoreWithoutCastELi4ELi1EEEEEvT0_T1_.has_indirect_call)
	.section	.AMDGPU.csdata,"",@progbits
; Kernel info:
; codeLenInByte = 184
; TotalNumSgprs: 45
; NumVgprs: 84
; ScratchSize: 0
; MemoryBound: 0
; FloatMode: 240
; IeeeMode: 1
; LDSByteSize: 0 bytes/workgroup (compile time only)
; SGPRBlocks: 0
; VGPRBlocks: 10
; NumSGPRsForWavesPerEU: 45
; NumVGPRsForWavesPerEU: 84
; Occupancy: 10
; WaveLimiterHint : 0
; COMPUTE_PGM_RSRC2:SCRATCH_EN: 0
; COMPUTE_PGM_RSRC2:USER_SGPR: 6
; COMPUTE_PGM_RSRC2:TRAP_HANDLER: 0
; COMPUTE_PGM_RSRC2:TGID_X_EN: 1
; COMPUTE_PGM_RSRC2:TGID_Y_EN: 0
; COMPUTE_PGM_RSRC2:TGID_Z_EN: 0
; COMPUTE_PGM_RSRC2:TIDIG_COMP_CNT: 0
	.section	.text._ZN2at6native29vectorized_elementwise_kernelILi2EZZZNS0_12_GLOBAL__N_121bessel_y1_kernel_cudaERNS_18TensorIteratorBaseEENKUlvE_clEvENKUlvE_clEvEUldE_St5arrayIPcLm2EEEEviT0_T1_,"axG",@progbits,_ZN2at6native29vectorized_elementwise_kernelILi2EZZZNS0_12_GLOBAL__N_121bessel_y1_kernel_cudaERNS_18TensorIteratorBaseEENKUlvE_clEvENKUlvE_clEvEUldE_St5arrayIPcLm2EEEEviT0_T1_,comdat
	.globl	_ZN2at6native29vectorized_elementwise_kernelILi2EZZZNS0_12_GLOBAL__N_121bessel_y1_kernel_cudaERNS_18TensorIteratorBaseEENKUlvE_clEvENKUlvE_clEvEUldE_St5arrayIPcLm2EEEEviT0_T1_ ; -- Begin function _ZN2at6native29vectorized_elementwise_kernelILi2EZZZNS0_12_GLOBAL__N_121bessel_y1_kernel_cudaERNS_18TensorIteratorBaseEENKUlvE_clEvENKUlvE_clEvEUldE_St5arrayIPcLm2EEEEviT0_T1_
	.p2align	8
	.type	_ZN2at6native29vectorized_elementwise_kernelILi2EZZZNS0_12_GLOBAL__N_121bessel_y1_kernel_cudaERNS_18TensorIteratorBaseEENKUlvE_clEvENKUlvE_clEvEUldE_St5arrayIPcLm2EEEEviT0_T1_,@function
_ZN2at6native29vectorized_elementwise_kernelILi2EZZZNS0_12_GLOBAL__N_121bessel_y1_kernel_cudaERNS_18TensorIteratorBaseEENKUlvE_clEvENKUlvE_clEvEUldE_St5arrayIPcLm2EEEEviT0_T1_: ; @_ZN2at6native29vectorized_elementwise_kernelILi2EZZZNS0_12_GLOBAL__N_121bessel_y1_kernel_cudaERNS_18TensorIteratorBaseEENKUlvE_clEvENKUlvE_clEvEUldE_St5arrayIPcLm2EEEEviT0_T1_
; %bb.0:
	s_add_u32 s0, s0, s7
	s_clause 0x1
	s_load_dword s7, s[4:5], 0x0
	s_load_dwordx4 s[8:11], s[4:5], 0x8
	s_addc_u32 s1, s1, 0
	s_lshl_b32 s4, s6, 10
	s_mov_b32 s5, -1
	s_mov_b32 s32, 0
	s_waitcnt lgkmcnt(0)
	s_sub_i32 s20, s7, s4
	s_cmpk_gt_i32 s20, 0x3ff
	s_cbranch_scc0 .LBB5_10
; %bb.1:
	s_ashr_i32 s5, s4, 31
	v_lshlrev_b32_e32 v27, 4, v0
	s_lshl_b64 s[12:13], s[4:5], 3
                                        ; implicit-def: $vgpr5_vgpr6
	s_add_u32 s4, s10, s12
	s_addc_u32 s5, s11, s13
	global_load_dwordx4 v[7:10], v27, s[4:5]
	v_add_co_u32 v1, s4, s4, v27
	v_add_co_ci_u32_e64 v2, null, s5, 0, s4
	s_mov_b32 s4, exec_lo
	v_add_co_u32 v1, vcc_lo, 0x1000, v1
	v_add_co_ci_u32_e64 v2, null, 0, v2, vcc_lo
	global_load_dwordx4 v[1:4], v[1:2], off
	s_waitcnt vmcnt(1)
	v_cmpx_ge_f64_e32 0x40140000, v[7:8]
	s_xor_b32 s7, exec_lo, s4
	s_cbranch_execz .LBB5_7
; %bb.2:
	v_mov_b32_e32 v5, 0
	v_mov_b32_e32 v6, 0xfff00000
	s_mov_b32 s14, exec_lo
	v_cmpx_neq_f64_e32 0, v[7:8]
	s_cbranch_execz .LBB5_6
; %bb.3:
	v_mov_b32_e32 v5, 0
	v_mov_b32_e32 v6, 0x7ff80000
	s_mov_b32 s15, exec_lo
	v_cmpx_nge_f64_e32 0, v[7:8]
	s_cbranch_execz .LBB5_5
; %bb.4:
	v_frexp_mant_f64_e32 v[5:6], v[7:8]
	s_mov_b32 s5, 0x3fe55555
	s_mov_b32 s4, 0x55555555
	;; [unrolled: 1-line block ×8, first 2 shown]
	v_frexp_exp_i32_f64_e32 v32, v[7:8]
	s_mov_b32 s24, 0xfefa39ef
	s_mov_b32 s25, 0x3fe62e42
	v_cmp_gt_f64_e32 vcc_lo, s[4:5], v[5:6]
	s_mov_b32 s4, 0x55555780
	v_cndmask_b32_e64 v11, 0, 1, vcc_lo
	v_ldexp_f64 v[5:6], v[5:6], v11
	v_add_f64 v[11:12], v[5:6], 1.0
	v_add_f64 v[17:18], v[5:6], -1.0
	v_rcp_f64_e32 v[13:14], v[11:12]
	v_add_f64 v[19:20], v[11:12], -1.0
	v_add_f64 v[5:6], v[5:6], -v[19:20]
	v_fma_f64 v[15:16], -v[11:12], v[13:14], 1.0
	v_fma_f64 v[13:14], v[15:16], v[13:14], v[13:14]
	v_fma_f64 v[15:16], -v[11:12], v[13:14], 1.0
	v_fma_f64 v[13:14], v[15:16], v[13:14], v[13:14]
	v_mul_f64 v[15:16], v[17:18], v[13:14]
	v_mul_f64 v[21:22], v[11:12], v[15:16]
	v_fma_f64 v[11:12], v[15:16], v[11:12], -v[21:22]
	v_fma_f64 v[5:6], v[15:16], v[5:6], v[11:12]
	v_add_f64 v[11:12], v[21:22], v[5:6]
	v_add_f64 v[19:20], v[17:18], -v[11:12]
	v_add_f64 v[21:22], v[11:12], -v[21:22]
	;; [unrolled: 1-line block ×5, first 2 shown]
	v_add_f64 v[5:6], v[5:6], v[11:12]
	v_add_f64 v[5:6], v[19:20], v[5:6]
	v_mul_f64 v[19:20], v[7:8], v[7:8]
	v_mul_f64 v[5:6], v[13:14], v[5:6]
	v_add_f64 v[11:12], v[15:16], v[5:6]
	v_mul_f64 v[13:14], v[11:12], v[11:12]
	v_ldexp_f64 v[30:31], v[11:12], 1
	v_fma_f64 v[17:18], v[13:14], s[18:19], s[16:17]
	s_mov_b32 s16, 0xd7f4df2e
	s_mov_b32 s17, 0x3fc7474d
	;; [unrolled: 1-line block ×4, first 2 shown]
	v_mul_f64 v[28:29], v[11:12], v[13:14]
	v_fma_f64 v[23:24], v[19:20], 0, s[18:19]
	s_mov_b32 s18, 0xdd701b2
	s_mov_b32 s19, 0x410f5eda
	v_add_f64 v[11:12], v[11:12], -v[15:16]
	v_fma_f64 v[17:18], v[13:14], v[17:18], s[16:17]
	s_mov_b32 s16, 0xa93f7ac2
	s_mov_b32 s17, 0x40829269
	v_fma_f64 v[21:22], v[19:20], 0, s[16:17]
	s_mov_b32 s16, 0x16291751
	s_mov_b32 s17, 0x3fcc71c0
	v_fma_f64 v[23:24], v[19:20], v[23:24], s[18:19]
	s_mov_b32 s18, 0xa9c8acee
	s_mov_b32 s19, 0x419184ef
	v_add_f64 v[5:6], v[5:6], -v[11:12]
	v_fma_f64 v[17:18], v[13:14], v[17:18], s[16:17]
	s_mov_b32 s16, 0xbe58ef7f
	s_mov_b32 s17, 0x410cc160
	v_fma_f64 v[21:22], v[19:20], v[21:22], s[16:17]
	s_mov_b32 s16, 0x9b27acf1
	s_mov_b32 s17, 0x3fd24924
	;; [unrolled: 3-line block ×3, first 2 shown]
	v_ldexp_f64 v[5:6], v[5:6], 1
	v_fma_f64 v[17:18], v[13:14], v[17:18], s[16:17]
	s_mov_b32 s16, 0x62f9b6c5
	s_mov_b32 s17, 0x41d2d2be
	v_fma_f64 v[25:26], v[19:20], 0, s[16:17]
	v_fma_f64 v[21:22], v[19:20], v[21:22], s[18:19]
	s_mov_b32 s16, 0x998ef7b6
	s_mov_b32 s17, 0x3fd99999
	;; [unrolled: 1-line block ×4, first 2 shown]
	v_fma_f64 v[23:24], v[19:20], v[23:24], s[22:23]
	s_mov_b32 s22, 0x8076ffa8
	s_mov_b32 s23, 0x429146fb
	v_fma_f64 v[17:18], v[13:14], v[17:18], s[16:17]
	s_mov_b32 s16, 0x58836521
	s_mov_b32 s17, 0xc262d72d
	v_fma_f64 v[25:26], v[19:20], v[25:26], s[16:17]
	v_fma_f64 v[21:22], v[19:20], v[21:22], s[18:19]
	s_mov_b32 s16, 0xfda99316
	s_mov_b32 s18, 0x4cda4fc5
	;; [unrolled: 1-line block ×4, first 2 shown]
	v_fma_f64 v[23:24], v[19:20], v[23:24], s[22:23]
	s_mov_b32 s22, 0x3eccf45f
	s_mov_b32 s23, 0x43064b0a
	v_fma_f64 v[13:14], v[13:14], v[17:18], s[4:5]
	s_mov_b32 s4, 0xb0910fef
	s_mov_b32 s5, 0x42da0954
	v_fma_f64 v[17:18], v[19:20], v[25:26], s[4:5]
	v_fma_f64 v[21:22], v[19:20], v[21:22], s[16:17]
	;; [unrolled: 1-line block ×3, first 2 shown]
	s_mov_b32 s4, 0x37a1b083
	s_mov_b32 s16, 0xd71d1e4e
	;; [unrolled: 1-line block ×6, first 2 shown]
	v_fma_f64 v[23:24], v[19:20], v[23:24], s[22:23]
	s_mov_b32 s22, 0xf4653f81
	s_mov_b32 s23, 0x4373e0bf
	v_mul_f64 v[13:14], v[28:29], v[13:14]
	v_subrev_co_ci_u32_e64 v28, null, 0, v32, vcc_lo
	v_fma_f64 v[17:18], v[19:20], v[17:18], s[4:5]
	v_fma_f64 v[21:22], v[19:20], v[21:22], s[16:17]
	;; [unrolled: 1-line block ×3, first 2 shown]
	v_cvt_f64_i32_e32 v[28:29], v28
	s_mov_b32 s4, 0xb7366b1
	s_mov_b32 s16, 0xc547a488
	;; [unrolled: 1-line block ×6, first 2 shown]
	v_fma_f64 v[23:24], v[19:20], v[23:24], s[22:23]
	s_mov_b32 s22, 0xa697c482
	s_mov_b32 s23, 0x432a2b42
	v_add_f64 v[15:16], v[30:31], v[13:14]
	v_fma_f64 v[17:18], v[19:20], v[17:18], s[4:5]
	v_fma_f64 v[21:22], v[19:20], v[21:22], s[16:17]
	;; [unrolled: 1-line block ×3, first 2 shown]
	v_mul_f64 v[32:33], v[28:29], s[24:25]
	s_mov_b32 s4, 0x90f6747f
	s_mov_b32 s16, 0x5dde2b17
	;; [unrolled: 1-line block ×6, first 2 shown]
	v_add_f64 v[11:12], v[15:16], -v[30:31]
	v_fma_f64 v[17:18], v[19:20], v[17:18], s[16:17]
	v_fma_f64 v[21:22], v[19:20], v[21:22], s[4:5]
	;; [unrolled: 1-line block ×4, first 2 shown]
	v_fma_f64 v[23:24], v[28:29], s[24:25], -v[32:33]
	s_mov_b32 s4, 0x3b39803f
	s_mov_b32 s5, 0x3c7abc9e
	v_add_f64 v[11:12], v[13:14], -v[11:12]
	v_div_scale_f64 v[13:14], null, v[21:22], v[21:22], v[17:18]
	v_div_scale_f64 v[30:31], null, v[19:20], v[19:20], v[25:26]
	v_fma_f64 v[23:24], v[28:29], s[4:5], v[23:24]
	v_add_f64 v[5:6], v[5:6], v[11:12]
	v_rcp_f64_e32 v[11:12], v[13:14]
	v_rcp_f64_e32 v[28:29], v[30:31]
	v_add_f64 v[34:35], v[32:33], v[23:24]
	v_add_f64 v[36:37], v[15:16], v[5:6]
	v_fma_f64 v[38:39], -v[13:14], v[11:12], 1.0
	v_fma_f64 v[40:41], -v[30:31], v[28:29], 1.0
	v_add_f64 v[32:33], v[34:35], -v[32:33]
	v_add_f64 v[42:43], v[34:35], v[36:37]
	v_add_f64 v[15:16], v[36:37], -v[15:16]
	v_fma_f64 v[11:12], v[11:12], v[38:39], v[11:12]
	v_fma_f64 v[28:29], v[28:29], v[40:41], v[28:29]
	v_div_scale_f64 v[40:41], null, v[7:8], v[7:8], -1.0
	v_add_f64 v[23:24], v[23:24], -v[32:33]
	v_div_scale_f64 v[32:33], vcc_lo, v[17:18], v[21:22], v[17:18]
	v_add_f64 v[38:39], v[42:43], -v[34:35]
	v_add_f64 v[5:6], v[5:6], -v[15:16]
	v_fma_f64 v[44:45], -v[13:14], v[11:12], 1.0
	v_fma_f64 v[46:47], -v[30:31], v[28:29], 1.0
	v_rcp_f64_e32 v[50:51], v[40:41]
	v_add_f64 v[48:49], v[42:43], -v[38:39]
	v_add_f64 v[15:16], v[36:37], -v[38:39]
	v_fma_f64 v[11:12], v[11:12], v[44:45], v[11:12]
	v_div_scale_f64 v[44:45], s4, v[25:26], v[19:20], v[25:26]
	v_fma_f64 v[28:29], v[28:29], v[46:47], v[28:29]
	v_fma_f64 v[36:37], -v[40:41], v[50:51], 1.0
	v_add_f64 v[34:35], v[34:35], -v[48:49]
	v_add_f64 v[48:49], v[23:24], v[5:6]
	v_mul_f64 v[38:39], v[32:33], v[11:12]
	v_mul_f64 v[46:47], v[44:45], v[28:29]
	v_add_f64 v[15:16], v[15:16], v[34:35]
	v_fma_f64 v[34:35], v[50:51], v[36:37], v[50:51]
	v_fma_f64 v[13:14], -v[13:14], v[38:39], v[32:33]
	v_add_f64 v[32:33], v[48:49], -v[23:24]
	v_fma_f64 v[30:31], -v[30:31], v[46:47], v[44:45]
	v_add_f64 v[15:16], v[48:49], v[15:16]
	v_fma_f64 v[36:37], -v[40:41], v[34:35], 1.0
	v_div_fmas_f64 v[11:12], v[13:14], v[11:12], v[38:39]
	s_mov_b32 vcc_lo, s4
	v_add_f64 v[5:6], v[5:6], -v[32:33]
	v_div_fmas_f64 v[13:14], v[30:31], v[28:29], v[46:47]
	v_add_f64 v[28:29], v[48:49], -v[32:33]
	v_div_scale_f64 v[38:39], vcc_lo, -1.0, v[7:8], -1.0
	s_mov_b32 s4, 0x4189822c
	s_mov_b32 s5, 0xc02d5d2b
	v_add_f64 v[30:31], v[42:43], v[15:16]
	v_fma_f64 v[34:35], v[34:35], v[36:37], v[34:35]
	v_div_fixup_f64 v[11:12], v[11:12], v[21:22], v[17:18]
	v_div_fixup_f64 v[13:14], v[13:14], v[19:20], v[25:26]
	v_add_f64 v[19:20], v[23:24], -v[28:29]
	v_fma_f64 v[28:29], v[7:8], v[7:8], s[4:5]
	s_mov_b32 s4, 0x6072a432
	s_mov_b32 s5, 0xc0489bf6
	v_add_f64 v[23:24], v[30:31], -v[42:43]
	v_mul_f64 v[25:26], v[38:39], v[34:35]
	v_mul_f64 v[13:14], v[7:8], v[13:14]
	v_add_f64 v[5:6], v[5:6], v[19:20]
	v_add_f64 v[15:16], v[15:16], -v[23:24]
	v_fma_f64 v[19:20], -v[40:41], v[25:26], v[38:39]
	v_fma_f64 v[23:24], v[7:8], v[7:8], s[4:5]
	s_mov_b32 s4, 0x6dc9c883
	s_mov_b32 s5, 0x3fe45f30
	v_mul_f64 v[13:14], v[28:29], v[13:14]
	v_add_f64 v[5:6], v[5:6], v[15:16]
	v_div_fmas_f64 v[15:16], v[19:20], v[34:35], v[25:26]
	v_mul_f64 v[13:14], v[23:24], v[13:14]
	v_add_f64 v[5:6], v[30:31], v[5:6]
	v_div_fixup_f64 v[15:16], v[15:16], v[7:8], -1.0
	v_fma_f64 v[5:6], v[13:14], v[5:6], v[15:16]
	v_mul_f64 v[5:6], v[5:6], s[4:5]
	v_fma_f64 v[5:6], v[7:8], v[11:12], v[5:6]
.LBB5_5:
	s_or_b32 exec_lo, exec_lo, s15
.LBB5_6:
	s_or_b32 exec_lo, exec_lo, s14
.LBB5_7:
	s_andn2_saveexec_b32 s14, s7
	s_cbranch_execz .LBB5_19
; %bb.8:
	s_mov_b32 s4, 0x7f3321d2
	s_mov_b32 s5, 0xc002d97c
                                        ; implicit-def: $vgpr28
                                        ; implicit-def: $vgpr11_vgpr12
                                        ; implicit-def: $vgpr13_vgpr14
	v_add_f64 v[5:6], v[7:8], s[4:5]
	v_cmp_ngt_f64_e64 s4, 0x41d00000, |v[5:6]|
	v_trig_preop_f64 v[23:24], |v[5:6]|, 0
	v_trig_preop_f64 v[21:22], |v[5:6]|, 1
	v_ldexp_f64 v[25:26], |v[5:6]|, 0xffffff80
	v_trig_preop_f64 v[19:20], |v[5:6]|, 2
	v_and_b32_e32 v30, 0x7fffffff, v6
	s_and_saveexec_b32 s5, s4
	s_xor_b32 s5, exec_lo, s5
	s_cbranch_execz .LBB5_12
; %bb.9:
	v_cmp_le_f64_e64 vcc_lo, 0x7b000000, |v[5:6]|
	v_mov_b32_e32 v41, 0
	s_mov_b32 s16, 0x54442d18
	s_mov_b32 s17, 0x3ff921fb
	;; [unrolled: 1-line block ×4, first 2 shown]
	v_cndmask_b32_e32 v12, v30, v26, vcc_lo
	v_cndmask_b32_e32 v11, v5, v25, vcc_lo
	v_mul_f64 v[13:14], v[23:24], v[11:12]
	v_mul_f64 v[15:16], v[21:22], v[11:12]
	;; [unrolled: 1-line block ×3, first 2 shown]
	v_fma_f64 v[17:18], v[23:24], v[11:12], -v[13:14]
	v_fma_f64 v[39:40], v[21:22], v[11:12], -v[15:16]
	;; [unrolled: 1-line block ×3, first 2 shown]
	v_add_f64 v[28:29], v[15:16], v[17:18]
	v_add_f64 v[31:32], v[28:29], -v[15:16]
	v_add_f64 v[35:36], v[13:14], v[28:29]
	v_add_f64 v[33:34], v[28:29], -v[31:32]
	v_add_f64 v[17:18], v[17:18], -v[31:32]
	v_ldexp_f64 v[31:32], v[35:36], -2
	v_add_f64 v[13:14], v[35:36], -v[13:14]
	v_add_f64 v[15:16], v[15:16], -v[33:34]
	v_add_f64 v[33:34], v[37:38], v[39:40]
	v_cmp_neq_f64_e64 vcc_lo, 0x7ff00000, |v[31:32]|
	v_add_f64 v[13:14], v[28:29], -v[13:14]
	v_add_f64 v[15:16], v[17:18], v[15:16]
	v_fract_f64_e32 v[17:18], v[31:32]
	v_add_f64 v[28:29], v[33:34], v[15:16]
	v_ldexp_f64 v[17:18], v[17:18], 2
	v_add_f64 v[31:32], v[13:14], v[28:29]
	v_cndmask_b32_e32 v18, 0, v18, vcc_lo
	v_cndmask_b32_e32 v17, 0, v17, vcc_lo
	v_add_f64 v[35:36], v[31:32], v[17:18]
	v_add_f64 v[13:14], v[31:32], -v[13:14]
	v_cmp_gt_f64_e32 vcc_lo, 0, v[35:36]
	v_add_f64 v[35:36], v[33:34], -v[37:38]
	v_add_f64 v[13:14], v[28:29], -v[13:14]
	v_cndmask_b32_e64 v42, 0, 0x40100000, vcc_lo
	v_add_f64 v[46:47], v[33:34], -v[35:36]
	v_add_f64 v[35:36], v[39:40], -v[35:36]
	v_add_f64 v[17:18], v[17:18], v[41:42]
	v_add_f64 v[42:43], v[28:29], -v[33:34]
	v_add_f64 v[39:40], v[37:38], -v[46:47]
	v_add_f64 v[44:45], v[31:32], v[17:18]
	;; [unrolled: 3-line block ×3, first 2 shown]
	v_cvt_i32_f64_e32 v44, v[44:45]
	v_add_f64 v[33:34], v[33:34], -v[48:49]
	v_cvt_f64_i32_e32 v[42:43], v44
	v_add_f64 v[15:16], v[15:16], v[33:34]
	v_add_f64 v[17:18], v[17:18], -v[42:43]
	v_add_f64 v[15:16], v[35:36], v[15:16]
	v_add_f64 v[33:34], v[31:32], v[17:18]
	;; [unrolled: 1-line block ×3, first 2 shown]
	v_add_f64 v[15:16], v[33:34], -v[17:18]
	v_cmp_le_f64_e32 vcc_lo, 0.5, v[33:34]
	v_add_f64 v[11:12], v[13:14], v[11:12]
	v_add_f64 v[13:14], v[31:32], -v[15:16]
	v_cndmask_b32_e64 v42, 0, 0x3ff00000, vcc_lo
	v_add_co_ci_u32_e64 v28, null, 0, v44, vcc_lo
	v_add_f64 v[11:12], v[11:12], v[13:14]
	v_add_f64 v[13:14], v[33:34], -v[41:42]
	v_add_f64 v[15:16], v[13:14], v[11:12]
	v_mul_f64 v[17:18], v[15:16], s[16:17]
	v_add_f64 v[13:14], v[15:16], -v[13:14]
	v_fma_f64 v[31:32], v[15:16], s[16:17], -v[17:18]
	v_add_f64 v[11:12], v[11:12], -v[13:14]
	v_fma_f64 v[13:14], v[15:16], s[18:19], v[31:32]
	v_fma_f64 v[13:14], v[11:12], s[16:17], v[13:14]
	v_add_f64 v[11:12], v[17:18], v[13:14]
	v_add_f64 v[15:16], v[11:12], -v[17:18]
	v_add_f64 v[13:14], v[13:14], -v[15:16]
	s_andn2_saveexec_b32 s5, s5
	s_cbranch_execz .LBB5_14
	s_branch .LBB5_13
.LBB5_10:
	s_and_b32 vcc_lo, exec_lo, s5
	s_cbranch_vccz .LBB5_68
; %bb.11:
	v_mov_b32_e32 v31, v0
	v_mov_b32_e32 v0, s8
	;; [unrolled: 1-line block ×6, first 2 shown]
	s_getpc_b64 s[4:5]
	s_add_u32 s4, s4, _ZN2at6native25elementwise_kernel_helperILb0EZZZNS0_12_GLOBAL__N_121bessel_y1_kernel_cudaERNS_18TensorIteratorBaseEENKUlvE_clEvENKUlvE_clEvEUldE_NS0_6memory8policies11unroll_baseILi256ESt5arrayIPcLm2EE23TrivialOffsetCalculatorILi1EjESF_NS8_15LoadWithoutCastENS8_16StoreWithoutCastELi4ELi1EEEEEvT0_T1_@rel32@lo+4
	s_addc_u32 s5, s5, _ZN2at6native25elementwise_kernel_helperILb0EZZZNS0_12_GLOBAL__N_121bessel_y1_kernel_cudaERNS_18TensorIteratorBaseEENKUlvE_clEvENKUlvE_clEvEUldE_NS0_6memory8policies11unroll_baseILi256ESt5arrayIPcLm2EE23TrivialOffsetCalculatorILi1EjESF_NS8_15LoadWithoutCastENS8_16StoreWithoutCastELi4ELi1EEEEEvT0_T1_@rel32@hi+12
	s_mov_b32 s12, s6
	s_swappc_b64 s[30:31], s[4:5]
	s_endpgm
.LBB5_12:
	s_andn2_saveexec_b32 s5, s5
	s_cbranch_execz .LBB5_14
.LBB5_13:
	s_mov_b32 s16, 0x6dc9c883
	s_mov_b32 s17, 0x3fe45f30
	;; [unrolled: 1-line block ×3, first 2 shown]
	v_mul_f64 v[11:12], |v[5:6]|, s[16:17]
	s_mov_b32 s16, 0x54442d18
	s_mov_b32 s17, 0xbff921fb
	;; [unrolled: 1-line block ×3, first 2 shown]
	v_rndne_f64_e32 v[15:16], v[11:12]
	v_fma_f64 v[11:12], v[15:16], s[16:17], |v[5:6]|
	v_mul_f64 v[13:14], v[15:16], s[18:19]
	s_mov_b32 s16, 0x252049c0
	s_mov_b32 s17, 0xb97b839a
	v_fma_f64 v[28:29], v[15:16], s[18:19], v[11:12]
	v_add_f64 v[17:18], v[11:12], v[13:14]
	s_mov_b32 s19, 0x3c91a626
	v_add_f64 v[11:12], v[11:12], -v[17:18]
	v_add_f64 v[17:18], v[17:18], -v[28:29]
	v_add_f64 v[11:12], v[11:12], v[13:14]
	v_fma_f64 v[13:14], v[15:16], s[18:19], v[13:14]
	v_add_f64 v[11:12], v[17:18], v[11:12]
	v_add_f64 v[11:12], v[11:12], -v[13:14]
	v_fma_f64 v[13:14], v[15:16], s[16:17], v[11:12]
	v_add_f64 v[11:12], v[28:29], v[13:14]
	v_add_f64 v[17:18], v[11:12], -v[28:29]
	v_cvt_i32_f64_e32 v28, v[15:16]
	v_add_f64 v[13:14], v[13:14], -v[17:18]
.LBB5_14:
	s_or_b32 exec_lo, exec_lo, s5
                                        ; implicit-def: $vgpr29
                                        ; implicit-def: $vgpr15_vgpr16
                                        ; implicit-def: $vgpr17_vgpr18
	s_and_saveexec_b32 s5, s4
	s_xor_b32 s4, exec_lo, s5
	s_cbranch_execz .LBB5_16
; %bb.15:
	v_cmp_le_f64_e64 vcc_lo, 0x7b000000, |v[5:6]|
	v_mov_b32_e32 v39, 0
	s_mov_b32 s16, 0x54442d18
	s_mov_b32 s17, 0x3ff921fb
	s_mov_b32 s18, 0x33145c07
	s_mov_b32 s19, 0x3c91a626
	v_cndmask_b32_e32 v16, v30, v26, vcc_lo
	v_cndmask_b32_e32 v15, v5, v25, vcc_lo
	v_mul_f64 v[17:18], v[23:24], v[15:16]
	v_mul_f64 v[25:26], v[21:22], v[15:16]
	;; [unrolled: 1-line block ×3, first 2 shown]
	v_fma_f64 v[23:24], v[23:24], v[15:16], -v[17:18]
	v_fma_f64 v[21:22], v[21:22], v[15:16], -v[25:26]
	;; [unrolled: 1-line block ×3, first 2 shown]
	v_add_f64 v[29:30], v[25:26], v[23:24]
	v_add_f64 v[31:32], v[29:30], -v[25:26]
	v_add_f64 v[35:36], v[17:18], v[29:30]
	v_add_f64 v[33:34], v[29:30], -v[31:32]
	v_add_f64 v[23:24], v[23:24], -v[31:32]
	v_ldexp_f64 v[31:32], v[35:36], -2
	v_add_f64 v[17:18], v[35:36], -v[17:18]
	v_add_f64 v[25:26], v[25:26], -v[33:34]
	v_add_f64 v[33:34], v[37:38], v[21:22]
	v_cmp_neq_f64_e64 vcc_lo, 0x7ff00000, |v[31:32]|
	v_add_f64 v[17:18], v[29:30], -v[17:18]
	v_add_f64 v[23:24], v[23:24], v[25:26]
	v_fract_f64_e32 v[25:26], v[31:32]
	v_add_f64 v[29:30], v[33:34], v[23:24]
	v_ldexp_f64 v[25:26], v[25:26], 2
	v_add_f64 v[31:32], v[17:18], v[29:30]
	v_cndmask_b32_e32 v26, 0, v26, vcc_lo
	v_cndmask_b32_e32 v25, 0, v25, vcc_lo
	v_add_f64 v[35:36], v[31:32], v[25:26]
	v_add_f64 v[17:18], v[31:32], -v[17:18]
	v_cmp_gt_f64_e32 vcc_lo, 0, v[35:36]
	v_add_f64 v[35:36], v[33:34], -v[37:38]
	v_add_f64 v[17:18], v[29:30], -v[17:18]
	v_cndmask_b32_e64 v40, 0, 0x40100000, vcc_lo
	v_add_f64 v[44:45], v[33:34], -v[35:36]
	v_add_f64 v[21:22], v[21:22], -v[35:36]
	v_add_f64 v[25:26], v[25:26], v[39:40]
	v_add_f64 v[40:41], v[29:30], -v[33:34]
	v_add_f64 v[35:36], v[37:38], -v[44:45]
	v_add_f64 v[42:43], v[31:32], v[25:26]
	;; [unrolled: 3-line block ×3, first 2 shown]
	v_cvt_i32_f64_e32 v42, v[42:43]
	v_add_f64 v[33:34], v[33:34], -v[46:47]
	v_cvt_f64_i32_e32 v[40:41], v42
	v_add_f64 v[23:24], v[23:24], v[33:34]
	v_add_f64 v[25:26], v[25:26], -v[40:41]
	v_add_f64 v[19:20], v[21:22], v[23:24]
	v_add_f64 v[21:22], v[31:32], v[25:26]
	;; [unrolled: 1-line block ×3, first 2 shown]
	v_add_f64 v[19:20], v[21:22], -v[25:26]
	v_cmp_le_f64_e32 vcc_lo, 0.5, v[21:22]
	v_add_f64 v[15:16], v[17:18], v[15:16]
	v_add_f64 v[17:18], v[31:32], -v[19:20]
	v_cndmask_b32_e64 v40, 0, 0x3ff00000, vcc_lo
	v_add_co_ci_u32_e64 v29, null, 0, v42, vcc_lo
	v_add_f64 v[15:16], v[15:16], v[17:18]
	v_add_f64 v[17:18], v[21:22], -v[39:40]
	v_add_f64 v[19:20], v[17:18], v[15:16]
	v_mul_f64 v[21:22], v[19:20], s[16:17]
	v_add_f64 v[17:18], v[19:20], -v[17:18]
	v_fma_f64 v[23:24], v[19:20], s[16:17], -v[21:22]
	v_add_f64 v[15:16], v[15:16], -v[17:18]
	v_fma_f64 v[17:18], v[19:20], s[18:19], v[23:24]
	v_fma_f64 v[17:18], v[15:16], s[16:17], v[17:18]
	v_add_f64 v[15:16], v[21:22], v[17:18]
	v_add_f64 v[19:20], v[15:16], -v[21:22]
	v_add_f64 v[17:18], v[17:18], -v[19:20]
	s_andn2_saveexec_b32 s4, s4
	s_cbranch_execnz .LBB5_17
	s_branch .LBB5_18
.LBB5_16:
	s_andn2_saveexec_b32 s4, s4
	s_cbranch_execz .LBB5_18
.LBB5_17:
	s_mov_b32 s16, 0x6dc9c883
	s_mov_b32 s17, 0x3fe45f30
	;; [unrolled: 1-line block ×3, first 2 shown]
	v_mul_f64 v[15:16], |v[5:6]|, s[16:17]
	s_mov_b32 s16, 0x54442d18
	s_mov_b32 s17, 0xbff921fb
	;; [unrolled: 1-line block ×3, first 2 shown]
	v_rndne_f64_e32 v[19:20], v[15:16]
	v_fma_f64 v[15:16], v[19:20], s[16:17], |v[5:6]|
	v_mul_f64 v[17:18], v[19:20], s[18:19]
	s_mov_b32 s16, 0x252049c0
	s_mov_b32 s17, 0xb97b839a
	v_cvt_i32_f64_e32 v29, v[19:20]
	v_fma_f64 v[23:24], v[19:20], s[18:19], v[15:16]
	v_add_f64 v[21:22], v[15:16], v[17:18]
	s_mov_b32 s19, 0x3c91a626
	v_add_f64 v[15:16], v[15:16], -v[21:22]
	v_add_f64 v[21:22], v[21:22], -v[23:24]
	v_add_f64 v[15:16], v[15:16], v[17:18]
	v_fma_f64 v[17:18], v[19:20], s[18:19], v[17:18]
	v_add_f64 v[15:16], v[21:22], v[15:16]
	v_add_f64 v[15:16], v[15:16], -v[17:18]
	v_fma_f64 v[17:18], v[19:20], s[16:17], v[15:16]
	v_add_f64 v[15:16], v[23:24], v[17:18]
	v_add_f64 v[21:22], v[15:16], -v[23:24]
	v_add_f64 v[17:18], v[17:18], -v[21:22]
.LBB5_18:
	s_or_b32 exec_lo, exec_lo, s4
	v_div_scale_f64 v[19:20], null, v[7:8], v[7:8], 0x40140000
	v_div_scale_f64 v[25:26], vcc_lo, 0x40140000, v[7:8], 0x40140000
	s_mov_b32 s4, 0x6b70ba40
	s_mov_b32 s5, 0x3faa27fa
	;; [unrolled: 1-line block ×8, first 2 shown]
	v_mul_f64 v[36:37], v[11:12], v[11:12]
	v_mul_f64 v[42:43], v[15:16], v[15:16]
	v_mul_f64 v[66:67], v[13:14], 0.5
	v_mul_f64 v[72:73], v[17:18], 0.5
	v_rcp_f64_e32 v[21:22], v[19:20]
	v_mul_f64 v[54:55], v[36:37], 0.5
	v_mul_f64 v[68:69], v[11:12], -v[36:37]
	v_fma_f64 v[23:24], -v[19:20], v[21:22], 1.0
	v_fma_f64 v[21:22], v[21:22], v[23:24], v[21:22]
	v_fma_f64 v[23:24], -v[19:20], v[21:22], 1.0
	v_fma_f64 v[21:22], v[21:22], v[23:24], v[21:22]
	v_mul_f64 v[23:24], v[25:26], v[21:22]
	v_fma_f64 v[19:20], -v[19:20], v[23:24], v[25:26]
	v_div_fmas_f64 v[19:20], v[19:20], v[21:22], v[23:24]
	v_div_fixup_f64 v[19:20], v[19:20], v[7:8], 0x40140000
	v_mul_f64 v[21:22], v[19:20], v[19:20]
	v_fma_f64 v[23:24], v[21:22], 0, s[4:5]
	s_mov_b32 s4, 0x4c6c651b
	s_mov_b32 s5, 0x3f48f92c
	v_fma_f64 v[25:26], v[21:22], 0, s[16:17]
	v_fma_f64 v[30:31], v[21:22], 0, s[4:5]
	v_fma_f64 v[32:33], v[21:22], 0, s[22:23]
	s_mov_b32 s4, 0xa3fec4b6
	s_mov_b32 s16, 0x5948aa83
	s_mov_b32 s5, 0x3fb2b948
	s_mov_b32 s17, 0x3fb19fdd
	s_mov_b32 s22, 0xa20e5f6f
	s_mov_b32 s23, 0x409081cb
	v_fma_f64 v[23:24], v[21:22], v[23:24], s[18:19]
	s_mov_b32 s18, 0x9acf1c67
	s_mov_b32 s19, 0x4052f4b9
	v_fma_f64 v[25:26], v[21:22], v[25:26], s[16:17]
	v_fma_f64 v[30:31], v[21:22], v[30:31], s[4:5]
	v_fma_f64 v[32:33], v[21:22], v[32:33], s[22:23]
	s_mov_b32 s4, 0xc21596d6
	s_mov_b32 s16, 0xb850eed6
	s_mov_b32 s5, 0x3ff208fe
	s_mov_b32 s17, 0x3ff1aea9
	s_mov_b32 s22, 0x1bfdfe81
	s_mov_b32 s23, 0x40b37a69
	;; [unrolled: 12-line block ×5, first 2 shown]
	v_fma_f64 v[23:24], v[21:22], v[23:24], s[18:19]
	s_mov_b32 s18, 0x4c54bb0b
	s_mov_b32 s19, 0x406a760a
	v_fma_f64 v[25:26], v[21:22], v[25:26], s[16:17]
	v_fma_f64 v[30:31], v[21:22], v[30:31], s[4:5]
	;; [unrolled: 1-line block ×3, first 2 shown]
	s_mov_b32 s4, 0x4d159eb5
	s_mov_b32 s16, 0x6ae75997
	s_mov_b32 s5, 0x403934ff
	s_mov_b32 s17, 0x4075017f
	v_fma_f64 v[23:24], v[21:22], v[23:24], s[18:19]
	s_mov_b32 s18, 0x46cc5e42
	s_mov_b32 s19, 0xbda907db
	v_fma_f64 v[25:26], v[21:22], v[25:26], 1.0
	v_fma_f64 v[30:31], v[21:22], v[30:31], 1.0
	v_fma_f64 v[32:33], v[21:22], v[32:33], s[16:17]
	s_mov_b32 s16, 0xf9a43bb8
	s_mov_b32 s17, 0x3de5e0b2
	v_fma_f64 v[21:22], v[21:22], v[23:24], s[4:5]
	s_mov_b32 s4, 0xb42fdfa7
	s_mov_b32 s5, 0xbe5ae600
	v_div_scale_f64 v[23:24], null, v[25:26], v[25:26], v[30:31]
	v_fma_f64 v[44:45], v[36:37], s[16:17], s[4:5]
	v_fma_f64 v[50:51], v[42:43], s[16:17], s[4:5]
	s_mov_b32 s4, 0x796cde01
	s_mov_b32 s5, 0x3ec71de3
	;; [unrolled: 1-line block ×4, first 2 shown]
	v_div_scale_f64 v[74:75], vcc_lo, v[30:31], v[25:26], v[30:31]
	v_fma_f64 v[52:53], v[36:37], s[18:19], s[16:17]
	v_div_scale_f64 v[34:35], null, v[32:33], v[32:33], v[21:22]
	v_rcp_f64_e32 v[38:39], v[23:24]
	v_fma_f64 v[44:45], v[36:37], v[44:45], s[4:5]
	v_rcp_f64_e32 v[40:41], v[34:35]
	v_fma_f64 v[46:47], -v[23:24], v[38:39], 1.0
	v_fma_f64 v[48:49], -v[34:35], v[40:41], 1.0
	v_fma_f64 v[38:39], v[38:39], v[46:47], v[38:39]
	v_fma_f64 v[46:47], v[42:43], v[50:51], s[4:5]
	v_cmp_gt_f64_e64 s4, 0x10000000, v[7:8]
	v_fma_f64 v[50:51], v[42:43], s[18:19], s[16:17]
	s_mov_b32 s18, 0x19e83e5c
	s_mov_b32 s19, 0xbf2a01a0
	;; [unrolled: 1-line block ×3, first 2 shown]
	v_fma_f64 v[44:45], v[36:37], v[44:45], s[18:19]
	s_mov_b32 s17, 0xbe927e4f
	v_fma_f64 v[52:53], v[36:37], v[52:53], s[16:17]
	v_fma_f64 v[40:41], v[40:41], v[48:49], v[40:41]
	v_mul_f64 v[48:49], v[42:43], 0.5
	v_fma_f64 v[58:59], -v[23:24], v[38:39], 1.0
	v_fma_f64 v[46:47], v[42:43], v[46:47], s[18:19]
	v_cndmask_b32_e64 v56, 0, 0x100, s4
	v_fma_f64 v[50:51], v[42:43], v[50:51], s[16:17]
	s_mov_b32 s16, 0x11110bb3
	s_mov_b32 s17, 0x3f811111
	;; [unrolled: 1-line block ×3, first 2 shown]
	v_ldexp_f64 v[7:8], v[7:8], v56
	v_add_f64 v[56:57], -v[54:55], 1.0
	v_fma_f64 v[44:45], v[36:37], v[44:45], s[16:17]
	s_mov_b32 s19, 0x3efa01a0
	v_fma_f64 v[52:53], v[36:37], v[52:53], s[18:19]
	v_fma_f64 v[60:61], -v[34:35], v[40:41], 1.0
	v_add_f64 v[62:63], -v[48:49], 1.0
	v_fma_f64 v[38:39], v[38:39], v[58:59], v[38:39]
	v_div_scale_f64 v[58:59], s5, v[21:22], v[32:33], v[21:22]
	v_fma_f64 v[46:47], v[42:43], v[46:47], s[16:17]
	v_fma_f64 v[50:51], v[42:43], v[50:51], s[18:19]
	s_mov_b32 s16, 0x16c16967
	s_mov_b32 s17, 0xbf56c16c
	v_rsq_f64_e32 v[64:65], v[7:8]
	v_add_f64 v[70:71], -v[56:57], 1.0
	v_fma_f64 v[44:45], v[68:69], v[44:45], v[66:67]
	v_fma_f64 v[52:53], v[36:37], v[52:53], s[16:17]
	;; [unrolled: 1-line block ×3, first 2 shown]
	v_mul_f64 v[60:61], v[15:16], -v[42:43]
	v_add_f64 v[76:77], -v[62:63], 1.0
	v_mul_f64 v[66:67], v[74:75], v[38:39]
	v_fma_f64 v[50:51], v[42:43], v[50:51], s[16:17]
	s_mov_b32 s16, 0x55555555
	s_mov_b32 s17, 0x3fa55555
	v_add_f64 v[54:55], v[70:71], -v[54:55]
	v_mul_f64 v[78:79], v[7:8], v[64:65]
	v_mul_f64 v[64:65], v[64:65], 0.5
	v_fma_f64 v[52:53], v[36:37], v[52:53], s[16:17]
	v_mul_f64 v[70:71], v[58:59], v[40:41]
	v_fma_f64 v[46:47], v[60:61], v[46:47], v[72:73]
	v_add_f64 v[48:49], v[76:77], -v[48:49]
	v_mul_f64 v[72:73], v[36:37], v[36:37]
	v_fma_f64 v[23:24], -v[23:24], v[66:67], v[74:75]
	v_fma_f64 v[54:55], v[11:12], -v[13:14], v[54:55]
	v_fma_f64 v[13:14], v[36:37], v[44:45], -v[13:14]
	v_fma_f64 v[76:77], -v[64:65], v[78:79], 0.5
	v_mul_f64 v[44:45], v[42:43], v[42:43]
	v_fma_f64 v[34:35], -v[34:35], v[70:71], v[58:59]
	v_fma_f64 v[36:37], v[42:43], v[46:47], -v[17:18]
	v_fma_f64 v[17:18], v[15:16], -v[17:18], v[48:49]
	v_fma_f64 v[42:43], v[42:43], v[50:51], s[16:17]
	s_mov_b32 s17, 0xbfc55555
	v_div_fmas_f64 v[23:24], v[23:24], v[38:39], v[66:67]
	s_mov_b32 vcc_lo, s5
	v_cmp_class_f64_e64 s5, v[5:6], 0x1f8
	v_and_b32_e32 v5, 1, v29
	v_lshlrev_b32_e32 v29, 30, v29
	v_fma_f64 v[48:49], v[72:73], v[52:53], v[54:55]
	v_fma_f64 v[13:14], v[68:69], s[16:17], v[13:14]
	;; [unrolled: 1-line block ×4, first 2 shown]
	v_cmp_eq_u32_e64 s7, 0, v5
	v_div_fmas_f64 v[34:35], v[34:35], v[40:41], v[70:71]
	v_fma_f64 v[36:37], v[60:61], s[16:17], v[36:37]
	v_fma_f64 v[17:18], v[44:45], v[42:43], v[17:18]
	v_add_f64 v[42:43], v[56:57], v[48:49]
	v_add_f64 v[11:12], v[11:12], -v[13:14]
	v_fma_f64 v[40:41], -v[46:47], v[46:47], v[7:8]
	v_div_fixup_f64 v[13:14], v[34:35], v[32:33], v[21:22]
	v_add_f64 v[15:16], v[15:16], -v[36:37]
	v_and_b32_e32 v32, 1, v28
	v_add_f64 v[17:18], v[62:63], v[17:18]
	v_cmp_eq_u32_e32 vcc_lo, 0, v32
	v_cndmask_b32_e32 v11, v42, v11, vcc_lo
	v_fma_f64 v[21:22], v[40:41], v[38:39], v[46:47]
	v_mul_f64 v[13:14], v[19:20], v[13:14]
	v_xor_b32_e32 v5, 0x80000000, v16
	v_and_b32_e32 v16, 0x80000000, v29
	v_cndmask_b32_e64 v17, v15, v17, s7
	v_div_fixup_f64 v[19:20], v[23:24], v[25:26], v[30:31]
	v_cndmask_b32_e64 v5, v5, v18, s7
	v_cndmask_b32_e64 v17, 0, v17, s5
	v_xor_b32_e32 v18, v5, v16
	v_cndmask_b32_e64 v5, 0, v11, s5
	v_lshlrev_b32_e32 v11, 30, v28
	v_fma_f64 v[15:16], -v[21:22], v[21:22], v[7:8]
	v_cndmask_b32_e64 v18, 0x7ff80000, v18, s5
	v_xor_b32_e32 v6, v11, v6
	v_cndmask_b32_e32 v11, v43, v12, vcc_lo
	v_cmp_class_f64_e64 vcc_lo, v[7:8], 0x260
	v_mul_f64 v[13:14], v[13:14], v[17:18]
	v_and_b32_e32 v6, 0x80000000, v6
	v_xor_b32_e32 v6, v11, v6
	v_cndmask_b32_e64 v6, 0x7ff80000, v6, s5
	v_fma_f64 v[11:12], v[15:16], v[38:39], v[21:22]
	v_fma_f64 v[5:6], v[19:20], v[5:6], v[13:14]
	v_cndmask_b32_e64 v13, 0, 0xffffff80, s4
	s_mov_b32 s4, 0x33d43651
	s_mov_b32 s5, 0x3fe98845
	v_ldexp_f64 v[11:12], v[11:12], v13
	v_mul_f64 v[5:6], v[5:6], s[4:5]
	v_cndmask_b32_e32 v8, v12, v8, vcc_lo
	v_cndmask_b32_e32 v7, v11, v7, vcc_lo
	v_div_scale_f64 v[11:12], null, v[7:8], v[7:8], v[5:6]
	v_rcp_f64_e32 v[13:14], v[11:12]
	v_fma_f64 v[15:16], -v[11:12], v[13:14], 1.0
	v_fma_f64 v[13:14], v[13:14], v[15:16], v[13:14]
	v_fma_f64 v[15:16], -v[11:12], v[13:14], 1.0
	v_fma_f64 v[13:14], v[13:14], v[15:16], v[13:14]
	v_div_scale_f64 v[15:16], vcc_lo, v[5:6], v[7:8], v[5:6]
	v_mul_f64 v[17:18], v[15:16], v[13:14]
	v_fma_f64 v[11:12], -v[11:12], v[17:18], v[15:16]
	v_div_fmas_f64 v[11:12], v[11:12], v[13:14], v[17:18]
	v_div_fixup_f64 v[5:6], v[11:12], v[7:8], v[5:6]
.LBB5_19:
	s_or_b32 exec_lo, exec_lo, s14
	s_mov_b32 s4, exec_lo
	v_cmpx_ge_f64_e32 0x40140000, v[9:10]
	s_xor_b32 s7, exec_lo, s4
	s_cbranch_execz .LBB5_25
; %bb.20:
	v_mov_b32_e32 v7, 0
	v_mov_b32_e32 v8, 0xfff00000
	s_mov_b32 s14, exec_lo
	v_cmpx_neq_f64_e32 0, v[9:10]
	s_cbranch_execz .LBB5_24
; %bb.21:
	v_mov_b32_e32 v7, 0
	v_mov_b32_e32 v8, 0x7ff80000
	s_mov_b32 s15, exec_lo
	v_cmpx_nge_f64_e32 0, v[9:10]
	s_cbranch_execz .LBB5_23
; %bb.22:
	v_frexp_mant_f64_e32 v[7:8], v[9:10]
	s_mov_b32 s5, 0x3fe55555
	s_mov_b32 s4, 0x55555555
	s_mov_b32 s16, 0x6b47b09a
	s_mov_b32 s18, 0xbf559e2b
	s_mov_b32 s17, 0x3fc38538
	s_mov_b32 s19, 0x3fc3ab76
	s_mov_b32 s22, 0xdc92a1b1
	s_mov_b32 s23, 0x4193e954
	v_frexp_exp_i32_f64_e32 v32, v[9:10]
	s_mov_b32 s24, 0xfefa39ef
	s_mov_b32 s25, 0x3fe62e42
	v_cmp_gt_f64_e32 vcc_lo, s[4:5], v[7:8]
	s_mov_b32 s4, 0x55555780
	v_cndmask_b32_e64 v11, 0, 1, vcc_lo
	v_ldexp_f64 v[7:8], v[7:8], v11
	v_add_f64 v[11:12], v[7:8], 1.0
	v_add_f64 v[17:18], v[7:8], -1.0
	v_rcp_f64_e32 v[13:14], v[11:12]
	v_add_f64 v[19:20], v[11:12], -1.0
	v_add_f64 v[7:8], v[7:8], -v[19:20]
	v_fma_f64 v[15:16], -v[11:12], v[13:14], 1.0
	v_fma_f64 v[13:14], v[15:16], v[13:14], v[13:14]
	v_fma_f64 v[15:16], -v[11:12], v[13:14], 1.0
	v_fma_f64 v[13:14], v[15:16], v[13:14], v[13:14]
	v_mul_f64 v[15:16], v[17:18], v[13:14]
	v_mul_f64 v[21:22], v[11:12], v[15:16]
	v_fma_f64 v[11:12], v[15:16], v[11:12], -v[21:22]
	v_fma_f64 v[7:8], v[15:16], v[7:8], v[11:12]
	v_add_f64 v[11:12], v[21:22], v[7:8]
	v_add_f64 v[19:20], v[17:18], -v[11:12]
	v_add_f64 v[21:22], v[11:12], -v[21:22]
	;; [unrolled: 1-line block ×5, first 2 shown]
	v_add_f64 v[7:8], v[7:8], v[11:12]
	v_add_f64 v[7:8], v[19:20], v[7:8]
	v_mul_f64 v[19:20], v[9:10], v[9:10]
	v_mul_f64 v[7:8], v[13:14], v[7:8]
	v_add_f64 v[11:12], v[15:16], v[7:8]
	v_mul_f64 v[13:14], v[11:12], v[11:12]
	v_ldexp_f64 v[30:31], v[11:12], 1
	v_fma_f64 v[17:18], v[13:14], s[18:19], s[16:17]
	s_mov_b32 s16, 0xd7f4df2e
	s_mov_b32 s17, 0x3fc7474d
	;; [unrolled: 1-line block ×4, first 2 shown]
	v_mul_f64 v[28:29], v[11:12], v[13:14]
	v_fma_f64 v[23:24], v[19:20], 0, s[18:19]
	s_mov_b32 s18, 0xdd701b2
	s_mov_b32 s19, 0x410f5eda
	v_add_f64 v[11:12], v[11:12], -v[15:16]
	v_fma_f64 v[17:18], v[13:14], v[17:18], s[16:17]
	s_mov_b32 s16, 0xa93f7ac2
	s_mov_b32 s17, 0x40829269
	v_fma_f64 v[21:22], v[19:20], 0, s[16:17]
	s_mov_b32 s16, 0x16291751
	s_mov_b32 s17, 0x3fcc71c0
	;; [unrolled: 3-line block ×3, first 2 shown]
	v_add_f64 v[7:8], v[7:8], -v[11:12]
	v_fma_f64 v[17:18], v[13:14], v[17:18], s[16:17]
	s_mov_b32 s16, 0xbe58ef7f
	s_mov_b32 s17, 0x410cc160
	v_fma_f64 v[21:22], v[19:20], v[21:22], s[16:17]
	s_mov_b32 s16, 0x9b27acf1
	s_mov_b32 s17, 0x3fd24924
	;; [unrolled: 3-line block ×3, first 2 shown]
	v_ldexp_f64 v[7:8], v[7:8], 1
	v_fma_f64 v[17:18], v[13:14], v[17:18], s[16:17]
	s_mov_b32 s16, 0x62f9b6c5
	s_mov_b32 s17, 0x41d2d2be
	v_fma_f64 v[25:26], v[19:20], 0, s[16:17]
	v_fma_f64 v[21:22], v[19:20], v[21:22], s[18:19]
	s_mov_b32 s16, 0x998ef7b6
	s_mov_b32 s17, 0x3fd99999
	;; [unrolled: 1-line block ×4, first 2 shown]
	v_fma_f64 v[23:24], v[19:20], v[23:24], s[22:23]
	s_mov_b32 s22, 0x8076ffa8
	s_mov_b32 s23, 0x429146fb
	v_fma_f64 v[17:18], v[13:14], v[17:18], s[16:17]
	s_mov_b32 s16, 0x58836521
	s_mov_b32 s17, 0xc262d72d
	v_fma_f64 v[25:26], v[19:20], v[25:26], s[16:17]
	v_fma_f64 v[21:22], v[19:20], v[21:22], s[18:19]
	s_mov_b32 s16, 0xfda99316
	s_mov_b32 s18, 0x4cda4fc5
	;; [unrolled: 1-line block ×4, first 2 shown]
	v_fma_f64 v[23:24], v[19:20], v[23:24], s[22:23]
	s_mov_b32 s22, 0x3eccf45f
	s_mov_b32 s23, 0x43064b0a
	v_fma_f64 v[13:14], v[13:14], v[17:18], s[4:5]
	s_mov_b32 s4, 0xb0910fef
	s_mov_b32 s5, 0x42da0954
	v_fma_f64 v[17:18], v[19:20], v[25:26], s[4:5]
	v_fma_f64 v[21:22], v[19:20], v[21:22], s[16:17]
	;; [unrolled: 1-line block ×3, first 2 shown]
	s_mov_b32 s4, 0x37a1b083
	s_mov_b32 s16, 0xd71d1e4e
	;; [unrolled: 1-line block ×6, first 2 shown]
	v_fma_f64 v[23:24], v[19:20], v[23:24], s[22:23]
	s_mov_b32 s22, 0xf4653f81
	s_mov_b32 s23, 0x4373e0bf
	v_mul_f64 v[13:14], v[28:29], v[13:14]
	v_subrev_co_ci_u32_e64 v28, null, 0, v32, vcc_lo
	v_fma_f64 v[17:18], v[19:20], v[17:18], s[4:5]
	v_fma_f64 v[21:22], v[19:20], v[21:22], s[16:17]
	;; [unrolled: 1-line block ×3, first 2 shown]
	v_cvt_f64_i32_e32 v[28:29], v28
	s_mov_b32 s4, 0xb7366b1
	s_mov_b32 s16, 0xc547a488
	;; [unrolled: 1-line block ×6, first 2 shown]
	v_fma_f64 v[23:24], v[19:20], v[23:24], s[22:23]
	s_mov_b32 s22, 0xa697c482
	s_mov_b32 s23, 0x432a2b42
	v_add_f64 v[15:16], v[30:31], v[13:14]
	v_fma_f64 v[17:18], v[19:20], v[17:18], s[4:5]
	v_fma_f64 v[21:22], v[19:20], v[21:22], s[16:17]
	;; [unrolled: 1-line block ×3, first 2 shown]
	v_mul_f64 v[32:33], v[28:29], s[24:25]
	s_mov_b32 s4, 0x90f6747f
	s_mov_b32 s16, 0x5dde2b17
	;; [unrolled: 1-line block ×6, first 2 shown]
	v_add_f64 v[11:12], v[15:16], -v[30:31]
	v_fma_f64 v[17:18], v[19:20], v[17:18], s[16:17]
	v_fma_f64 v[21:22], v[19:20], v[21:22], s[4:5]
	;; [unrolled: 1-line block ×4, first 2 shown]
	v_fma_f64 v[23:24], v[28:29], s[24:25], -v[32:33]
	s_mov_b32 s4, 0x3b39803f
	s_mov_b32 s5, 0x3c7abc9e
	v_add_f64 v[11:12], v[13:14], -v[11:12]
	v_div_scale_f64 v[13:14], null, v[21:22], v[21:22], v[17:18]
	v_div_scale_f64 v[30:31], null, v[19:20], v[19:20], v[25:26]
	v_fma_f64 v[23:24], v[28:29], s[4:5], v[23:24]
	v_add_f64 v[7:8], v[7:8], v[11:12]
	v_rcp_f64_e32 v[11:12], v[13:14]
	v_rcp_f64_e32 v[28:29], v[30:31]
	v_add_f64 v[34:35], v[32:33], v[23:24]
	v_add_f64 v[36:37], v[15:16], v[7:8]
	v_fma_f64 v[38:39], -v[13:14], v[11:12], 1.0
	v_fma_f64 v[40:41], -v[30:31], v[28:29], 1.0
	v_add_f64 v[32:33], v[34:35], -v[32:33]
	v_add_f64 v[42:43], v[34:35], v[36:37]
	v_add_f64 v[15:16], v[36:37], -v[15:16]
	v_fma_f64 v[11:12], v[11:12], v[38:39], v[11:12]
	v_fma_f64 v[28:29], v[28:29], v[40:41], v[28:29]
	v_div_scale_f64 v[40:41], null, v[9:10], v[9:10], -1.0
	v_add_f64 v[23:24], v[23:24], -v[32:33]
	v_div_scale_f64 v[32:33], vcc_lo, v[17:18], v[21:22], v[17:18]
	v_add_f64 v[38:39], v[42:43], -v[34:35]
	v_add_f64 v[7:8], v[7:8], -v[15:16]
	v_fma_f64 v[44:45], -v[13:14], v[11:12], 1.0
	v_fma_f64 v[46:47], -v[30:31], v[28:29], 1.0
	v_rcp_f64_e32 v[50:51], v[40:41]
	v_add_f64 v[48:49], v[42:43], -v[38:39]
	v_add_f64 v[15:16], v[36:37], -v[38:39]
	v_fma_f64 v[11:12], v[11:12], v[44:45], v[11:12]
	v_div_scale_f64 v[44:45], s4, v[25:26], v[19:20], v[25:26]
	v_fma_f64 v[28:29], v[28:29], v[46:47], v[28:29]
	v_fma_f64 v[36:37], -v[40:41], v[50:51], 1.0
	v_add_f64 v[34:35], v[34:35], -v[48:49]
	v_add_f64 v[48:49], v[23:24], v[7:8]
	v_mul_f64 v[38:39], v[32:33], v[11:12]
	v_mul_f64 v[46:47], v[44:45], v[28:29]
	v_add_f64 v[15:16], v[15:16], v[34:35]
	v_fma_f64 v[34:35], v[50:51], v[36:37], v[50:51]
	v_fma_f64 v[13:14], -v[13:14], v[38:39], v[32:33]
	v_add_f64 v[32:33], v[48:49], -v[23:24]
	v_fma_f64 v[30:31], -v[30:31], v[46:47], v[44:45]
	v_add_f64 v[15:16], v[48:49], v[15:16]
	v_fma_f64 v[36:37], -v[40:41], v[34:35], 1.0
	v_div_fmas_f64 v[11:12], v[13:14], v[11:12], v[38:39]
	s_mov_b32 vcc_lo, s4
	v_add_f64 v[7:8], v[7:8], -v[32:33]
	v_div_fmas_f64 v[13:14], v[30:31], v[28:29], v[46:47]
	v_add_f64 v[28:29], v[48:49], -v[32:33]
	v_div_scale_f64 v[38:39], vcc_lo, -1.0, v[9:10], -1.0
	s_mov_b32 s4, 0x4189822c
	s_mov_b32 s5, 0xc02d5d2b
	v_add_f64 v[30:31], v[42:43], v[15:16]
	v_fma_f64 v[34:35], v[34:35], v[36:37], v[34:35]
	v_div_fixup_f64 v[11:12], v[11:12], v[21:22], v[17:18]
	v_div_fixup_f64 v[13:14], v[13:14], v[19:20], v[25:26]
	v_add_f64 v[19:20], v[23:24], -v[28:29]
	v_fma_f64 v[28:29], v[9:10], v[9:10], s[4:5]
	s_mov_b32 s4, 0x6072a432
	s_mov_b32 s5, 0xc0489bf6
	v_add_f64 v[23:24], v[30:31], -v[42:43]
	v_mul_f64 v[25:26], v[38:39], v[34:35]
	v_mul_f64 v[13:14], v[9:10], v[13:14]
	v_add_f64 v[7:8], v[7:8], v[19:20]
	v_add_f64 v[15:16], v[15:16], -v[23:24]
	v_fma_f64 v[19:20], -v[40:41], v[25:26], v[38:39]
	v_fma_f64 v[23:24], v[9:10], v[9:10], s[4:5]
	s_mov_b32 s4, 0x6dc9c883
	s_mov_b32 s5, 0x3fe45f30
	v_mul_f64 v[13:14], v[28:29], v[13:14]
	v_add_f64 v[7:8], v[7:8], v[15:16]
	v_div_fmas_f64 v[15:16], v[19:20], v[34:35], v[25:26]
	v_mul_f64 v[13:14], v[23:24], v[13:14]
	v_add_f64 v[7:8], v[30:31], v[7:8]
	v_div_fixup_f64 v[15:16], v[15:16], v[9:10], -1.0
	v_fma_f64 v[7:8], v[13:14], v[7:8], v[15:16]
	v_mul_f64 v[7:8], v[7:8], s[4:5]
	v_fma_f64 v[7:8], v[9:10], v[11:12], v[7:8]
.LBB5_23:
	s_or_b32 exec_lo, exec_lo, s15
.LBB5_24:
	s_or_b32 exec_lo, exec_lo, s14
                                        ; implicit-def: $vgpr9_vgpr10
.LBB5_25:
	s_andn2_saveexec_b32 s7, s7
	s_cbranch_execz .LBB5_35
; %bb.26:
	s_mov_b32 s4, 0x7f3321d2
	s_mov_b32 s5, 0xc002d97c
                                        ; implicit-def: $vgpr28
                                        ; implicit-def: $vgpr11_vgpr12
                                        ; implicit-def: $vgpr13_vgpr14
	v_add_f64 v[7:8], v[9:10], s[4:5]
	v_cmp_ngt_f64_e64 s4, 0x41d00000, |v[7:8]|
	v_trig_preop_f64 v[23:24], |v[7:8]|, 0
	v_trig_preop_f64 v[21:22], |v[7:8]|, 1
	v_ldexp_f64 v[25:26], |v[7:8]|, 0xffffff80
	v_trig_preop_f64 v[17:18], |v[7:8]|, 2
	v_and_b32_e32 v30, 0x7fffffff, v8
	s_and_saveexec_b32 s5, s4
	s_xor_b32 s5, exec_lo, s5
	s_cbranch_execz .LBB5_28
; %bb.27:
	v_cmp_le_f64_e64 vcc_lo, 0x7b000000, |v[7:8]|
	v_mov_b32_e32 v41, 0
	s_mov_b32 s14, 0x54442d18
	s_mov_b32 s15, 0x3ff921fb
	;; [unrolled: 1-line block ×4, first 2 shown]
	v_cndmask_b32_e32 v12, v30, v26, vcc_lo
	v_cndmask_b32_e32 v11, v7, v25, vcc_lo
	v_mul_f64 v[13:14], v[23:24], v[11:12]
	v_mul_f64 v[15:16], v[21:22], v[11:12]
	;; [unrolled: 1-line block ×3, first 2 shown]
	v_fma_f64 v[19:20], v[23:24], v[11:12], -v[13:14]
	v_fma_f64 v[39:40], v[21:22], v[11:12], -v[15:16]
	;; [unrolled: 1-line block ×3, first 2 shown]
	v_add_f64 v[28:29], v[15:16], v[19:20]
	v_add_f64 v[31:32], v[28:29], -v[15:16]
	v_add_f64 v[35:36], v[13:14], v[28:29]
	v_add_f64 v[33:34], v[28:29], -v[31:32]
	v_add_f64 v[19:20], v[19:20], -v[31:32]
	v_ldexp_f64 v[31:32], v[35:36], -2
	v_add_f64 v[13:14], v[35:36], -v[13:14]
	v_add_f64 v[15:16], v[15:16], -v[33:34]
	v_add_f64 v[33:34], v[37:38], v[39:40]
	v_cmp_neq_f64_e64 vcc_lo, 0x7ff00000, |v[31:32]|
	v_add_f64 v[13:14], v[28:29], -v[13:14]
	v_add_f64 v[15:16], v[19:20], v[15:16]
	v_fract_f64_e32 v[19:20], v[31:32]
	v_add_f64 v[28:29], v[33:34], v[15:16]
	v_ldexp_f64 v[19:20], v[19:20], 2
	v_add_f64 v[31:32], v[13:14], v[28:29]
	v_cndmask_b32_e32 v20, 0, v20, vcc_lo
	v_cndmask_b32_e32 v19, 0, v19, vcc_lo
	v_add_f64 v[35:36], v[31:32], v[19:20]
	v_add_f64 v[13:14], v[31:32], -v[13:14]
	v_cmp_gt_f64_e32 vcc_lo, 0, v[35:36]
	v_add_f64 v[35:36], v[33:34], -v[37:38]
	v_add_f64 v[13:14], v[28:29], -v[13:14]
	v_cndmask_b32_e64 v42, 0, 0x40100000, vcc_lo
	v_add_f64 v[46:47], v[33:34], -v[35:36]
	v_add_f64 v[35:36], v[39:40], -v[35:36]
	v_add_f64 v[19:20], v[19:20], v[41:42]
	v_add_f64 v[42:43], v[28:29], -v[33:34]
	v_add_f64 v[39:40], v[37:38], -v[46:47]
	v_add_f64 v[44:45], v[31:32], v[19:20]
	;; [unrolled: 3-line block ×3, first 2 shown]
	v_cvt_i32_f64_e32 v44, v[44:45]
	v_add_f64 v[33:34], v[33:34], -v[48:49]
	v_cvt_f64_i32_e32 v[42:43], v44
	v_add_f64 v[15:16], v[15:16], v[33:34]
	v_add_f64 v[19:20], v[19:20], -v[42:43]
	v_add_f64 v[15:16], v[35:36], v[15:16]
	v_add_f64 v[33:34], v[31:32], v[19:20]
	;; [unrolled: 1-line block ×3, first 2 shown]
	v_add_f64 v[15:16], v[33:34], -v[19:20]
	v_cmp_le_f64_e32 vcc_lo, 0.5, v[33:34]
	v_add_f64 v[11:12], v[13:14], v[11:12]
	v_add_f64 v[13:14], v[31:32], -v[15:16]
	v_cndmask_b32_e64 v42, 0, 0x3ff00000, vcc_lo
	v_add_co_ci_u32_e64 v28, null, 0, v44, vcc_lo
	v_add_f64 v[11:12], v[11:12], v[13:14]
	v_add_f64 v[13:14], v[33:34], -v[41:42]
	v_add_f64 v[15:16], v[13:14], v[11:12]
	v_mul_f64 v[19:20], v[15:16], s[14:15]
	v_add_f64 v[13:14], v[15:16], -v[13:14]
	v_fma_f64 v[31:32], v[15:16], s[14:15], -v[19:20]
	v_add_f64 v[11:12], v[11:12], -v[13:14]
	v_fma_f64 v[13:14], v[15:16], s[16:17], v[31:32]
	v_fma_f64 v[13:14], v[11:12], s[14:15], v[13:14]
	v_add_f64 v[11:12], v[19:20], v[13:14]
	v_add_f64 v[15:16], v[11:12], -v[19:20]
	v_add_f64 v[13:14], v[13:14], -v[15:16]
	s_andn2_saveexec_b32 s5, s5
	s_cbranch_execz .LBB5_30
	s_branch .LBB5_29
.LBB5_28:
	s_andn2_saveexec_b32 s5, s5
	s_cbranch_execz .LBB5_30
.LBB5_29:
	s_mov_b32 s14, 0x6dc9c883
	s_mov_b32 s15, 0x3fe45f30
	;; [unrolled: 1-line block ×3, first 2 shown]
	v_mul_f64 v[11:12], |v[7:8]|, s[14:15]
	s_mov_b32 s14, 0x54442d18
	s_mov_b32 s15, 0xbff921fb
	;; [unrolled: 1-line block ×3, first 2 shown]
	v_rndne_f64_e32 v[15:16], v[11:12]
	v_fma_f64 v[11:12], v[15:16], s[14:15], |v[7:8]|
	v_mul_f64 v[13:14], v[15:16], s[16:17]
	s_mov_b32 s14, 0x252049c0
	s_mov_b32 s15, 0xb97b839a
	v_fma_f64 v[28:29], v[15:16], s[16:17], v[11:12]
	v_add_f64 v[19:20], v[11:12], v[13:14]
	s_mov_b32 s17, 0x3c91a626
	v_add_f64 v[11:12], v[11:12], -v[19:20]
	v_add_f64 v[19:20], v[19:20], -v[28:29]
	v_add_f64 v[11:12], v[11:12], v[13:14]
	v_fma_f64 v[13:14], v[15:16], s[16:17], v[13:14]
	v_add_f64 v[11:12], v[19:20], v[11:12]
	v_add_f64 v[11:12], v[11:12], -v[13:14]
	v_fma_f64 v[13:14], v[15:16], s[14:15], v[11:12]
	v_add_f64 v[11:12], v[28:29], v[13:14]
	v_add_f64 v[19:20], v[11:12], -v[28:29]
	v_cvt_i32_f64_e32 v28, v[15:16]
	v_add_f64 v[13:14], v[13:14], -v[19:20]
.LBB5_30:
	s_or_b32 exec_lo, exec_lo, s5
                                        ; implicit-def: $vgpr29
                                        ; implicit-def: $vgpr15_vgpr16
                                        ; implicit-def: $vgpr19_vgpr20
	s_and_saveexec_b32 s5, s4
	s_xor_b32 s4, exec_lo, s5
	s_cbranch_execz .LBB5_32
; %bb.31:
	v_cmp_le_f64_e64 vcc_lo, 0x7b000000, |v[7:8]|
	v_mov_b32_e32 v39, 0
	s_mov_b32 s14, 0x54442d18
	s_mov_b32 s15, 0x3ff921fb
	;; [unrolled: 1-line block ×4, first 2 shown]
	v_cndmask_b32_e32 v16, v30, v26, vcc_lo
	v_cndmask_b32_e32 v15, v7, v25, vcc_lo
	v_mul_f64 v[19:20], v[23:24], v[15:16]
	v_mul_f64 v[25:26], v[21:22], v[15:16]
	;; [unrolled: 1-line block ×3, first 2 shown]
	v_fma_f64 v[23:24], v[23:24], v[15:16], -v[19:20]
	v_fma_f64 v[21:22], v[21:22], v[15:16], -v[25:26]
	;; [unrolled: 1-line block ×3, first 2 shown]
	v_add_f64 v[29:30], v[25:26], v[23:24]
	v_add_f64 v[31:32], v[29:30], -v[25:26]
	v_add_f64 v[35:36], v[19:20], v[29:30]
	v_add_f64 v[33:34], v[29:30], -v[31:32]
	v_add_f64 v[23:24], v[23:24], -v[31:32]
	v_ldexp_f64 v[31:32], v[35:36], -2
	v_add_f64 v[19:20], v[35:36], -v[19:20]
	v_add_f64 v[25:26], v[25:26], -v[33:34]
	v_add_f64 v[33:34], v[37:38], v[21:22]
	v_cmp_neq_f64_e64 vcc_lo, 0x7ff00000, |v[31:32]|
	v_add_f64 v[19:20], v[29:30], -v[19:20]
	v_add_f64 v[23:24], v[23:24], v[25:26]
	v_fract_f64_e32 v[25:26], v[31:32]
	v_add_f64 v[29:30], v[33:34], v[23:24]
	v_ldexp_f64 v[25:26], v[25:26], 2
	v_add_f64 v[31:32], v[19:20], v[29:30]
	v_cndmask_b32_e32 v26, 0, v26, vcc_lo
	v_cndmask_b32_e32 v25, 0, v25, vcc_lo
	v_add_f64 v[35:36], v[31:32], v[25:26]
	v_add_f64 v[17:18], v[31:32], -v[19:20]
	v_cmp_gt_f64_e32 vcc_lo, 0, v[35:36]
	v_add_f64 v[35:36], v[33:34], -v[37:38]
	v_add_f64 v[17:18], v[29:30], -v[17:18]
	v_cndmask_b32_e64 v40, 0, 0x40100000, vcc_lo
	v_add_f64 v[44:45], v[33:34], -v[35:36]
	v_add_f64 v[21:22], v[21:22], -v[35:36]
	v_add_f64 v[25:26], v[25:26], v[39:40]
	v_add_f64 v[40:41], v[29:30], -v[33:34]
	v_add_f64 v[35:36], v[37:38], -v[44:45]
	v_add_f64 v[42:43], v[31:32], v[25:26]
	;; [unrolled: 3-line block ×3, first 2 shown]
	v_cvt_i32_f64_e32 v42, v[42:43]
	v_add_f64 v[33:34], v[33:34], -v[46:47]
	v_cvt_f64_i32_e32 v[40:41], v42
	v_add_f64 v[23:24], v[23:24], v[33:34]
	v_add_f64 v[25:26], v[25:26], -v[40:41]
	v_add_f64 v[19:20], v[21:22], v[23:24]
	v_add_f64 v[21:22], v[31:32], v[25:26]
	;; [unrolled: 1-line block ×3, first 2 shown]
	v_add_f64 v[19:20], v[21:22], -v[25:26]
	v_cmp_le_f64_e32 vcc_lo, 0.5, v[21:22]
	v_add_f64 v[15:16], v[17:18], v[15:16]
	v_add_f64 v[17:18], v[31:32], -v[19:20]
	v_cndmask_b32_e64 v40, 0, 0x3ff00000, vcc_lo
	v_add_co_ci_u32_e64 v29, null, 0, v42, vcc_lo
	v_add_f64 v[15:16], v[15:16], v[17:18]
	v_add_f64 v[17:18], v[21:22], -v[39:40]
	v_add_f64 v[19:20], v[17:18], v[15:16]
	v_mul_f64 v[21:22], v[19:20], s[14:15]
	v_add_f64 v[17:18], v[19:20], -v[17:18]
	v_fma_f64 v[23:24], v[19:20], s[14:15], -v[21:22]
	v_add_f64 v[15:16], v[15:16], -v[17:18]
	v_fma_f64 v[17:18], v[19:20], s[16:17], v[23:24]
	v_fma_f64 v[17:18], v[15:16], s[14:15], v[17:18]
	v_add_f64 v[15:16], v[21:22], v[17:18]
	v_add_f64 v[19:20], v[15:16], -v[21:22]
	v_add_f64 v[19:20], v[17:18], -v[19:20]
	s_andn2_saveexec_b32 s4, s4
	s_cbranch_execnz .LBB5_33
	s_branch .LBB5_34
.LBB5_32:
	s_andn2_saveexec_b32 s4, s4
	s_cbranch_execz .LBB5_34
.LBB5_33:
	s_mov_b32 s14, 0x6dc9c883
	s_mov_b32 s15, 0x3fe45f30
	;; [unrolled: 1-line block ×3, first 2 shown]
	v_mul_f64 v[15:16], |v[7:8]|, s[14:15]
	s_mov_b32 s14, 0x54442d18
	s_mov_b32 s15, 0xbff921fb
	;; [unrolled: 1-line block ×3, first 2 shown]
	v_rndne_f64_e32 v[17:18], v[15:16]
	v_fma_f64 v[15:16], v[17:18], s[14:15], |v[7:8]|
	v_mul_f64 v[19:20], v[17:18], s[16:17]
	s_mov_b32 s14, 0x252049c0
	s_mov_b32 s15, 0xb97b839a
	v_cvt_i32_f64_e32 v29, v[17:18]
	v_fma_f64 v[23:24], v[17:18], s[16:17], v[15:16]
	v_add_f64 v[21:22], v[15:16], v[19:20]
	s_mov_b32 s17, 0x3c91a626
	v_add_f64 v[15:16], v[15:16], -v[21:22]
	v_add_f64 v[21:22], v[21:22], -v[23:24]
	v_add_f64 v[15:16], v[15:16], v[19:20]
	v_fma_f64 v[19:20], v[17:18], s[16:17], v[19:20]
	v_add_f64 v[15:16], v[21:22], v[15:16]
	v_add_f64 v[15:16], v[15:16], -v[19:20]
	v_fma_f64 v[19:20], v[17:18], s[14:15], v[15:16]
	v_add_f64 v[15:16], v[23:24], v[19:20]
	v_add_f64 v[21:22], v[15:16], -v[23:24]
	v_add_f64 v[19:20], v[19:20], -v[21:22]
.LBB5_34:
	s_or_b32 exec_lo, exec_lo, s4
	v_div_scale_f64 v[17:18], null, v[9:10], v[9:10], 0x40140000
	v_div_scale_f64 v[25:26], vcc_lo, 0x40140000, v[9:10], 0x40140000
	s_mov_b32 s4, 0x6b70ba40
	s_mov_b32 s5, 0x3faa27fa
	;; [unrolled: 1-line block ×8, first 2 shown]
	v_mul_f64 v[36:37], v[15:16], v[15:16]
	v_mul_f64 v[48:49], v[11:12], v[11:12]
	s_mov_b32 s22, 0x9037ab78
	s_mov_b32 s24, 0x46cc5e42
	;; [unrolled: 1-line block ×6, first 2 shown]
	v_mul_f64 v[58:59], v[19:20], 0.5
	v_mul_f64 v[74:75], v[13:14], 0.5
	v_rcp_f64_e32 v[21:22], v[17:18]
	v_fma_f64 v[50:51], v[36:37], s[24:25], s[22:23]
	v_mul_f64 v[52:53], v[36:37], 0.5
	v_fma_f64 v[60:61], v[48:49], s[24:25], s[22:23]
	v_mul_f64 v[62:63], v[48:49], 0.5
	v_mul_f64 v[64:65], v[15:16], -v[36:37]
	v_mul_f64 v[76:77], v[11:12], -v[48:49]
	v_mul_f64 v[80:81], v[36:37], v[36:37]
	v_fma_f64 v[23:24], -v[17:18], v[21:22], 1.0
	v_fma_f64 v[21:22], v[21:22], v[23:24], v[21:22]
	v_fma_f64 v[23:24], -v[17:18], v[21:22], 1.0
	v_fma_f64 v[21:22], v[21:22], v[23:24], v[21:22]
	v_mul_f64 v[23:24], v[25:26], v[21:22]
	v_fma_f64 v[17:18], -v[17:18], v[23:24], v[25:26]
	v_div_fmas_f64 v[17:18], v[17:18], v[21:22], v[23:24]
	v_div_fixup_f64 v[17:18], v[17:18], v[9:10], 0x40140000
	v_mul_f64 v[21:22], v[17:18], v[17:18]
	v_fma_f64 v[23:24], v[21:22], 0, s[4:5]
	s_mov_b32 s4, 0x4c6c651b
	s_mov_b32 s5, 0x3f48f92c
	v_fma_f64 v[25:26], v[21:22], 0, s[14:15]
	v_fma_f64 v[30:31], v[21:22], 0, s[4:5]
	v_fma_f64 v[32:33], v[21:22], 0, s[18:19]
	s_mov_b32 s4, 0xa3fec4b6
	s_mov_b32 s14, 0x5948aa83
	s_mov_b32 s5, 0x3fb2b948
	s_mov_b32 s15, 0x3fb19fdd
	s_mov_b32 s18, 0xa20e5f6f
	s_mov_b32 s19, 0x409081cb
	v_fma_f64 v[23:24], v[21:22], v[23:24], s[16:17]
	s_mov_b32 s16, 0x9acf1c67
	s_mov_b32 s17, 0x4052f4b9
	v_fma_f64 v[25:26], v[21:22], v[25:26], s[14:15]
	v_fma_f64 v[30:31], v[21:22], v[30:31], s[4:5]
	v_fma_f64 v[32:33], v[21:22], v[32:33], s[18:19]
	s_mov_b32 s4, 0xc21596d6
	s_mov_b32 s14, 0xb850eed6
	s_mov_b32 s5, 0x3ff208fe
	s_mov_b32 s15, 0x3ff1aea9
	s_mov_b32 s18, 0x1bfdfe81
	s_mov_b32 s19, 0x40b37a69
	;; [unrolled: 12-line block ×6, first 2 shown]
	v_fma_f64 v[23:24], v[21:22], v[23:24], s[16:17]
	s_mov_b32 s16, 0xb42fdfa7
	s_mov_b32 s17, 0xbe5ae600
	v_fma_f64 v[25:26], v[21:22], v[25:26], 1.0
	v_fma_f64 v[30:31], v[21:22], v[30:31], 1.0
	v_fma_f64 v[32:33], v[21:22], v[32:33], s[14:15]
	v_fma_f64 v[42:43], v[36:37], s[18:19], s[16:17]
	s_mov_b32 s14, 0x796cde01
	s_mov_b32 s15, 0x3ec71de3
	v_fma_f64 v[21:22], v[21:22], v[23:24], s[4:5]
	v_cmp_gt_f64_e64 s4, 0x10000000, v[9:10]
	v_div_scale_f64 v[23:24], null, v[25:26], v[25:26], v[30:31]
	v_fma_f64 v[42:43], v[36:37], v[42:43], s[14:15]
	v_div_scale_f64 v[70:71], vcc_lo, v[30:31], v[25:26], v[30:31]
	v_div_scale_f64 v[34:35], null, v[32:33], v[32:33], v[21:22]
	v_rcp_f64_e32 v[38:39], v[23:24]
	v_fma_f64 v[42:43], v[36:37], v[42:43], s[26:27]
	v_rcp_f64_e32 v[40:41], v[34:35]
	v_fma_f64 v[44:45], -v[23:24], v[38:39], 1.0
	v_fma_f64 v[46:47], -v[34:35], v[40:41], 1.0
	v_fma_f64 v[38:39], v[38:39], v[44:45], v[38:39]
	v_fma_f64 v[44:45], v[48:49], s[18:19], s[16:17]
	s_mov_b32 s16, 0xa17f65f6
	s_mov_b32 s17, 0xbe927e4f
	;; [unrolled: 1-line block ×4, first 2 shown]
	v_fma_f64 v[42:43], v[36:37], v[42:43], s[18:19]
	v_fma_f64 v[40:41], v[40:41], v[46:47], v[40:41]
	v_cndmask_b32_e64 v46, 0, 0x100, s4
	v_fma_f64 v[54:55], -v[23:24], v[38:39], 1.0
	v_fma_f64 v[44:45], v[48:49], v[44:45], s[14:15]
	v_ldexp_f64 v[9:10], v[9:10], v46
	v_fma_f64 v[46:47], v[36:37], v[50:51], s[16:17]
	v_add_f64 v[50:51], -v[52:53], 1.0
	s_mov_b32 s14, 0x19f4ec90
	s_mov_b32 s15, 0x3efa01a0
	v_fma_f64 v[42:43], v[64:65], v[42:43], v[58:59]
	v_fma_f64 v[56:57], -v[34:35], v[40:41], 1.0
	v_fma_f64 v[38:39], v[38:39], v[54:55], v[38:39]
	v_div_scale_f64 v[54:55], s5, v[21:22], v[32:33], v[21:22]
	v_fma_f64 v[46:47], v[36:37], v[46:47], s[14:15]
	v_add_f64 v[68:69], -v[50:51], 1.0
	v_rsq_f64_e32 v[66:67], v[9:10]
	v_fma_f64 v[44:45], v[48:49], v[44:45], s[26:27]
	v_fma_f64 v[42:43], v[36:37], v[42:43], -v[19:20]
	v_fma_f64 v[40:41], v[40:41], v[56:57], v[40:41]
	v_fma_f64 v[56:57], v[48:49], v[60:61], s[16:17]
	v_add_f64 v[60:61], -v[62:63], 1.0
	s_mov_b32 s16, 0x16c16967
	s_mov_b32 s17, 0xbf56c16c
	v_fma_f64 v[46:47], v[36:37], v[46:47], s[16:17]
	v_add_f64 v[52:53], v[68:69], -v[52:53]
	v_mul_f64 v[68:69], v[70:71], v[38:39]
	v_fma_f64 v[44:45], v[48:49], v[44:45], s[18:19]
	v_mul_f64 v[58:59], v[9:10], v[66:67]
	v_mul_f64 v[66:67], v[66:67], 0.5
	s_mov_b32 s19, 0xbfc55555
	v_mul_f64 v[72:73], v[54:55], v[40:41]
	v_fma_f64 v[56:57], v[48:49], v[56:57], s[14:15]
	v_add_f64 v[78:79], -v[60:61], 1.0
	s_mov_b32 s14, 0x55555555
	s_mov_b32 s15, 0x3fa55555
	;; [unrolled: 1-line block ×3, first 2 shown]
	v_fma_f64 v[36:37], v[36:37], v[46:47], s[14:15]
	v_fma_f64 v[19:20], v[15:16], -v[19:20], v[52:53]
	v_fma_f64 v[23:24], -v[23:24], v[68:69], v[70:71]
	v_fma_f64 v[44:45], v[76:77], v[44:45], v[74:75]
	v_fma_f64 v[42:43], v[64:65], s[18:19], v[42:43]
	v_fma_f64 v[82:83], -v[66:67], v[58:59], 0.5
	v_fma_f64 v[34:35], -v[34:35], v[72:73], v[54:55]
	v_fma_f64 v[46:47], v[48:49], v[56:57], s[16:17]
	v_add_f64 v[52:53], v[78:79], -v[62:63]
	v_fma_f64 v[19:20], v[80:81], v[36:37], v[19:20]
	v_div_fmas_f64 v[23:24], v[23:24], v[38:39], v[68:69]
	s_mov_b32 vcc_lo, s5
	v_mul_f64 v[36:37], v[48:49], v[48:49]
	v_fma_f64 v[54:55], v[58:59], v[82:83], v[58:59]
	v_add_f64 v[15:16], v[15:16], -v[42:43]
	v_fma_f64 v[42:43], v[66:67], v[82:83], v[66:67]
	v_div_fmas_f64 v[34:35], v[34:35], v[40:41], v[72:73]
	v_fma_f64 v[38:39], v[48:49], v[46:47], s[14:15]
	v_fma_f64 v[40:41], v[11:12], -v[13:14], v[52:53]
	v_fma_f64 v[13:14], v[48:49], v[44:45], -v[13:14]
	v_add_f64 v[19:20], v[50:51], v[19:20]
	v_fma_f64 v[44:45], -v[54:55], v[54:55], v[9:10]
	v_xor_b32_e32 v16, 0x80000000, v16
	v_div_fixup_f64 v[21:22], v[34:35], v[32:33], v[21:22]
	v_and_b32_e32 v34, 1, v29
	v_fma_f64 v[32:33], v[36:37], v[38:39], v[40:41]
	v_fma_f64 v[13:14], v[76:77], s[18:19], v[13:14]
	v_cmp_eq_u32_e32 vcc_lo, 0, v34
	v_cndmask_b32_e32 v20, v16, v20, vcc_lo
	v_cndmask_b32_e32 v19, v15, v19, vcc_lo
	v_cmp_class_f64_e64 vcc_lo, v[7:8], 0x1f8
	v_fma_f64 v[34:35], v[44:45], v[42:43], v[54:55]
	v_lshlrev_b32_e32 v7, 30, v29
	v_and_b32_e32 v7, 0x80000000, v7
	v_mul_f64 v[15:16], v[17:18], v[21:22]
	v_lshlrev_b32_e32 v21, 30, v28
	v_add_f64 v[17:18], v[60:61], v[32:33]
	v_add_f64 v[11:12], v[11:12], -v[13:14]
	v_xor_b32_e32 v7, v20, v7
	v_xor_b32_e32 v21, v21, v8
	v_cndmask_b32_e32 v19, 0, v19, vcc_lo
	v_cndmask_b32_e32 v20, 0x7ff80000, v7, vcc_lo
	v_fma_f64 v[13:14], -v[34:35], v[34:35], v[9:10]
	v_div_fixup_f64 v[7:8], v[23:24], v[25:26], v[30:31]
	v_mul_f64 v[15:16], v[15:16], v[19:20]
	v_and_b32_e32 v19, 1, v28
	v_and_b32_e32 v20, 0x80000000, v21
	v_cmp_eq_u32_e64 s5, 0, v19
	v_cndmask_b32_e64 v12, v18, v12, s5
	v_cndmask_b32_e64 v17, v17, v11, s5
	v_xor_b32_e32 v18, v12, v20
	v_fma_f64 v[11:12], v[13:14], v[42:43], v[34:35]
	v_cndmask_b32_e32 v13, 0, v17, vcc_lo
	v_cndmask_b32_e32 v14, 0x7ff80000, v18, vcc_lo
	v_cmp_class_f64_e64 vcc_lo, v[9:10], 0x260
	v_fma_f64 v[7:8], v[7:8], v[13:14], v[15:16]
	v_cndmask_b32_e64 v13, 0, 0xffffff80, s4
	s_mov_b32 s4, 0x33d43651
	s_mov_b32 s5, 0x3fe98845
	v_ldexp_f64 v[11:12], v[11:12], v13
	v_mul_f64 v[7:8], v[7:8], s[4:5]
	v_cndmask_b32_e32 v10, v12, v10, vcc_lo
	v_cndmask_b32_e32 v9, v11, v9, vcc_lo
	v_div_scale_f64 v[11:12], null, v[9:10], v[9:10], v[7:8]
	v_rcp_f64_e32 v[13:14], v[11:12]
	v_fma_f64 v[15:16], -v[11:12], v[13:14], 1.0
	v_fma_f64 v[13:14], v[13:14], v[15:16], v[13:14]
	v_fma_f64 v[15:16], -v[11:12], v[13:14], 1.0
	v_fma_f64 v[13:14], v[13:14], v[15:16], v[13:14]
	v_div_scale_f64 v[15:16], vcc_lo, v[7:8], v[9:10], v[7:8]
	v_mul_f64 v[17:18], v[15:16], v[13:14]
	v_fma_f64 v[11:12], -v[11:12], v[17:18], v[15:16]
	v_div_fmas_f64 v[11:12], v[11:12], v[13:14], v[17:18]
	v_div_fixup_f64 v[7:8], v[11:12], v[9:10], v[7:8]
.LBB5_35:
	s_or_b32 exec_lo, exec_lo, s7
                                        ; implicit-def: $vgpr9_vgpr10
	s_mov_b32 s4, exec_lo
	s_waitcnt vmcnt(0)
	v_cmpx_ge_f64_e32 0x40140000, v[1:2]
	s_xor_b32 s7, exec_lo, s4
	s_cbranch_execz .LBB5_41
; %bb.36:
	v_mov_b32_e32 v9, 0
	v_mov_b32_e32 v10, 0xfff00000
	s_mov_b32 s14, exec_lo
	v_cmpx_neq_f64_e32 0, v[1:2]
	s_cbranch_execz .LBB5_40
; %bb.37:
	v_mov_b32_e32 v9, 0
	v_mov_b32_e32 v10, 0x7ff80000
	s_mov_b32 s15, exec_lo
	v_cmpx_nge_f64_e32 0, v[1:2]
	s_cbranch_execz .LBB5_39
; %bb.38:
	v_frexp_mant_f64_e32 v[9:10], v[1:2]
	s_mov_b32 s5, 0x3fe55555
	s_mov_b32 s4, 0x55555555
	;; [unrolled: 1-line block ×8, first 2 shown]
	v_frexp_exp_i32_f64_e32 v32, v[1:2]
	s_mov_b32 s24, 0xfefa39ef
	s_mov_b32 s25, 0x3fe62e42
	v_cmp_gt_f64_e32 vcc_lo, s[4:5], v[9:10]
	s_mov_b32 s4, 0x55555780
	v_cndmask_b32_e64 v11, 0, 1, vcc_lo
	v_ldexp_f64 v[9:10], v[9:10], v11
	v_add_f64 v[11:12], v[9:10], 1.0
	v_add_f64 v[17:18], v[9:10], -1.0
	v_rcp_f64_e32 v[13:14], v[11:12]
	v_add_f64 v[19:20], v[11:12], -1.0
	v_add_f64 v[9:10], v[9:10], -v[19:20]
	v_fma_f64 v[15:16], -v[11:12], v[13:14], 1.0
	v_fma_f64 v[13:14], v[15:16], v[13:14], v[13:14]
	v_fma_f64 v[15:16], -v[11:12], v[13:14], 1.0
	v_fma_f64 v[13:14], v[15:16], v[13:14], v[13:14]
	v_mul_f64 v[15:16], v[17:18], v[13:14]
	v_mul_f64 v[21:22], v[11:12], v[15:16]
	v_fma_f64 v[11:12], v[15:16], v[11:12], -v[21:22]
	v_fma_f64 v[9:10], v[15:16], v[9:10], v[11:12]
	v_add_f64 v[11:12], v[21:22], v[9:10]
	v_add_f64 v[19:20], v[17:18], -v[11:12]
	v_add_f64 v[21:22], v[11:12], -v[21:22]
	;; [unrolled: 1-line block ×5, first 2 shown]
	v_add_f64 v[9:10], v[9:10], v[11:12]
	v_add_f64 v[9:10], v[19:20], v[9:10]
	v_mul_f64 v[19:20], v[1:2], v[1:2]
	v_mul_f64 v[9:10], v[13:14], v[9:10]
	v_add_f64 v[11:12], v[15:16], v[9:10]
	v_mul_f64 v[13:14], v[11:12], v[11:12]
	v_ldexp_f64 v[30:31], v[11:12], 1
	v_fma_f64 v[17:18], v[13:14], s[18:19], s[16:17]
	s_mov_b32 s16, 0xd7f4df2e
	s_mov_b32 s17, 0x3fc7474d
	;; [unrolled: 1-line block ×4, first 2 shown]
	v_mul_f64 v[28:29], v[11:12], v[13:14]
	v_fma_f64 v[23:24], v[19:20], 0, s[18:19]
	s_mov_b32 s18, 0xdd701b2
	s_mov_b32 s19, 0x410f5eda
	v_add_f64 v[11:12], v[11:12], -v[15:16]
	v_fma_f64 v[17:18], v[13:14], v[17:18], s[16:17]
	s_mov_b32 s16, 0xa93f7ac2
	s_mov_b32 s17, 0x40829269
	v_fma_f64 v[21:22], v[19:20], 0, s[16:17]
	s_mov_b32 s16, 0x16291751
	s_mov_b32 s17, 0x3fcc71c0
	;; [unrolled: 3-line block ×3, first 2 shown]
	v_add_f64 v[9:10], v[9:10], -v[11:12]
	v_fma_f64 v[17:18], v[13:14], v[17:18], s[16:17]
	s_mov_b32 s16, 0xbe58ef7f
	s_mov_b32 s17, 0x410cc160
	v_fma_f64 v[21:22], v[19:20], v[21:22], s[16:17]
	s_mov_b32 s16, 0x9b27acf1
	s_mov_b32 s17, 0x3fd24924
	;; [unrolled: 3-line block ×3, first 2 shown]
	v_ldexp_f64 v[9:10], v[9:10], 1
	v_fma_f64 v[17:18], v[13:14], v[17:18], s[16:17]
	s_mov_b32 s16, 0x62f9b6c5
	s_mov_b32 s17, 0x41d2d2be
	v_fma_f64 v[25:26], v[19:20], 0, s[16:17]
	v_fma_f64 v[21:22], v[19:20], v[21:22], s[18:19]
	s_mov_b32 s16, 0x998ef7b6
	s_mov_b32 s17, 0x3fd99999
	;; [unrolled: 1-line block ×4, first 2 shown]
	v_fma_f64 v[23:24], v[19:20], v[23:24], s[22:23]
	s_mov_b32 s22, 0x8076ffa8
	s_mov_b32 s23, 0x429146fb
	v_fma_f64 v[17:18], v[13:14], v[17:18], s[16:17]
	s_mov_b32 s16, 0x58836521
	s_mov_b32 s17, 0xc262d72d
	v_fma_f64 v[25:26], v[19:20], v[25:26], s[16:17]
	v_fma_f64 v[21:22], v[19:20], v[21:22], s[18:19]
	s_mov_b32 s16, 0xfda99316
	s_mov_b32 s18, 0x4cda4fc5
	;; [unrolled: 1-line block ×4, first 2 shown]
	v_fma_f64 v[23:24], v[19:20], v[23:24], s[22:23]
	s_mov_b32 s22, 0x3eccf45f
	s_mov_b32 s23, 0x43064b0a
	v_fma_f64 v[13:14], v[13:14], v[17:18], s[4:5]
	s_mov_b32 s4, 0xb0910fef
	s_mov_b32 s5, 0x42da0954
	v_fma_f64 v[17:18], v[19:20], v[25:26], s[4:5]
	v_fma_f64 v[21:22], v[19:20], v[21:22], s[16:17]
	;; [unrolled: 1-line block ×3, first 2 shown]
	s_mov_b32 s4, 0x37a1b083
	s_mov_b32 s16, 0xd71d1e4e
	s_mov_b32 s18, 0xd438c6b
	s_mov_b32 s5, 0xc33ce01a
	s_mov_b32 s17, 0x4301a326
	s_mov_b32 s19, 0x425a52ba
	v_fma_f64 v[23:24], v[19:20], v[23:24], s[22:23]
	s_mov_b32 s22, 0xf4653f81
	s_mov_b32 s23, 0x4373e0bf
	v_mul_f64 v[13:14], v[28:29], v[13:14]
	v_subrev_co_ci_u32_e64 v28, null, 0, v32, vcc_lo
	v_fma_f64 v[17:18], v[19:20], v[17:18], s[4:5]
	v_fma_f64 v[21:22], v[19:20], v[21:22], s[16:17]
	;; [unrolled: 1-line block ×3, first 2 shown]
	v_cvt_f64_i32_e32 v[28:29], v28
	s_mov_b32 s4, 0xb7366b1
	s_mov_b32 s16, 0xc547a488
	;; [unrolled: 1-line block ×6, first 2 shown]
	v_fma_f64 v[23:24], v[19:20], v[23:24], s[22:23]
	s_mov_b32 s22, 0xa697c482
	s_mov_b32 s23, 0x432a2b42
	v_add_f64 v[15:16], v[30:31], v[13:14]
	v_fma_f64 v[17:18], v[19:20], v[17:18], s[4:5]
	v_fma_f64 v[21:22], v[19:20], v[21:22], s[16:17]
	;; [unrolled: 1-line block ×3, first 2 shown]
	v_mul_f64 v[32:33], v[28:29], s[24:25]
	s_mov_b32 s4, 0x90f6747f
	s_mov_b32 s16, 0x5dde2b17
	s_mov_b32 s18, 0x76702939
	s_mov_b32 s5, 0x43cb90f1
	s_mov_b32 s17, 0xc3a59e41
	s_mov_b32 s19, 0x43d27795
	v_add_f64 v[11:12], v[15:16], -v[30:31]
	v_fma_f64 v[17:18], v[19:20], v[17:18], s[16:17]
	v_fma_f64 v[21:22], v[19:20], v[21:22], s[4:5]
	;; [unrolled: 1-line block ×4, first 2 shown]
	v_fma_f64 v[23:24], v[28:29], s[24:25], -v[32:33]
	s_mov_b32 s4, 0x3b39803f
	s_mov_b32 s5, 0x3c7abc9e
	v_add_f64 v[11:12], v[13:14], -v[11:12]
	v_div_scale_f64 v[13:14], null, v[21:22], v[21:22], v[17:18]
	v_div_scale_f64 v[30:31], null, v[19:20], v[19:20], v[25:26]
	v_fma_f64 v[23:24], v[28:29], s[4:5], v[23:24]
	v_add_f64 v[9:10], v[9:10], v[11:12]
	v_rcp_f64_e32 v[11:12], v[13:14]
	v_rcp_f64_e32 v[28:29], v[30:31]
	v_add_f64 v[34:35], v[32:33], v[23:24]
	v_add_f64 v[36:37], v[15:16], v[9:10]
	v_fma_f64 v[38:39], -v[13:14], v[11:12], 1.0
	v_fma_f64 v[40:41], -v[30:31], v[28:29], 1.0
	v_add_f64 v[32:33], v[34:35], -v[32:33]
	v_add_f64 v[42:43], v[34:35], v[36:37]
	v_add_f64 v[15:16], v[36:37], -v[15:16]
	v_fma_f64 v[11:12], v[11:12], v[38:39], v[11:12]
	v_fma_f64 v[28:29], v[28:29], v[40:41], v[28:29]
	v_div_scale_f64 v[40:41], null, v[1:2], v[1:2], -1.0
	v_add_f64 v[23:24], v[23:24], -v[32:33]
	v_div_scale_f64 v[32:33], vcc_lo, v[17:18], v[21:22], v[17:18]
	v_add_f64 v[38:39], v[42:43], -v[34:35]
	v_add_f64 v[9:10], v[9:10], -v[15:16]
	v_fma_f64 v[44:45], -v[13:14], v[11:12], 1.0
	v_fma_f64 v[46:47], -v[30:31], v[28:29], 1.0
	v_rcp_f64_e32 v[50:51], v[40:41]
	v_add_f64 v[48:49], v[42:43], -v[38:39]
	v_add_f64 v[15:16], v[36:37], -v[38:39]
	v_fma_f64 v[11:12], v[11:12], v[44:45], v[11:12]
	v_div_scale_f64 v[44:45], s4, v[25:26], v[19:20], v[25:26]
	v_fma_f64 v[28:29], v[28:29], v[46:47], v[28:29]
	v_fma_f64 v[36:37], -v[40:41], v[50:51], 1.0
	v_add_f64 v[34:35], v[34:35], -v[48:49]
	v_add_f64 v[48:49], v[23:24], v[9:10]
	v_mul_f64 v[38:39], v[32:33], v[11:12]
	v_mul_f64 v[46:47], v[44:45], v[28:29]
	v_add_f64 v[15:16], v[15:16], v[34:35]
	v_fma_f64 v[34:35], v[50:51], v[36:37], v[50:51]
	v_fma_f64 v[13:14], -v[13:14], v[38:39], v[32:33]
	v_add_f64 v[32:33], v[48:49], -v[23:24]
	v_fma_f64 v[30:31], -v[30:31], v[46:47], v[44:45]
	v_add_f64 v[15:16], v[48:49], v[15:16]
	v_fma_f64 v[36:37], -v[40:41], v[34:35], 1.0
	v_div_fmas_f64 v[11:12], v[13:14], v[11:12], v[38:39]
	s_mov_b32 vcc_lo, s4
	v_add_f64 v[9:10], v[9:10], -v[32:33]
	v_div_fmas_f64 v[13:14], v[30:31], v[28:29], v[46:47]
	v_add_f64 v[28:29], v[48:49], -v[32:33]
	v_div_scale_f64 v[38:39], vcc_lo, -1.0, v[1:2], -1.0
	s_mov_b32 s4, 0x4189822c
	s_mov_b32 s5, 0xc02d5d2b
	v_add_f64 v[30:31], v[42:43], v[15:16]
	v_fma_f64 v[34:35], v[34:35], v[36:37], v[34:35]
	v_div_fixup_f64 v[11:12], v[11:12], v[21:22], v[17:18]
	v_div_fixup_f64 v[13:14], v[13:14], v[19:20], v[25:26]
	v_add_f64 v[19:20], v[23:24], -v[28:29]
	v_fma_f64 v[28:29], v[1:2], v[1:2], s[4:5]
	s_mov_b32 s4, 0x6072a432
	s_mov_b32 s5, 0xc0489bf6
	v_add_f64 v[23:24], v[30:31], -v[42:43]
	v_mul_f64 v[25:26], v[38:39], v[34:35]
	v_mul_f64 v[13:14], v[1:2], v[13:14]
	v_add_f64 v[9:10], v[9:10], v[19:20]
	v_add_f64 v[15:16], v[15:16], -v[23:24]
	v_fma_f64 v[19:20], -v[40:41], v[25:26], v[38:39]
	v_fma_f64 v[23:24], v[1:2], v[1:2], s[4:5]
	s_mov_b32 s4, 0x6dc9c883
	s_mov_b32 s5, 0x3fe45f30
	v_mul_f64 v[13:14], v[28:29], v[13:14]
	v_add_f64 v[9:10], v[9:10], v[15:16]
	v_div_fmas_f64 v[15:16], v[19:20], v[34:35], v[25:26]
	v_mul_f64 v[13:14], v[23:24], v[13:14]
	v_add_f64 v[9:10], v[30:31], v[9:10]
	v_div_fixup_f64 v[15:16], v[15:16], v[1:2], -1.0
	v_fma_f64 v[9:10], v[13:14], v[9:10], v[15:16]
	v_mul_f64 v[9:10], v[9:10], s[4:5]
	v_fma_f64 v[9:10], v[1:2], v[11:12], v[9:10]
.LBB5_39:
	s_or_b32 exec_lo, exec_lo, s15
.LBB5_40:
	s_or_b32 exec_lo, exec_lo, s14
.LBB5_41:
	s_andn2_saveexec_b32 s7, s7
	s_cbranch_execz .LBB5_51
; %bb.42:
	s_mov_b32 s4, 0x7f3321d2
	s_mov_b32 s5, 0xc002d97c
                                        ; implicit-def: $vgpr28
                                        ; implicit-def: $vgpr11_vgpr12
                                        ; implicit-def: $vgpr13_vgpr14
	v_add_f64 v[9:10], v[1:2], s[4:5]
	v_cmp_ngt_f64_e64 s4, 0x41d00000, |v[9:10]|
	v_trig_preop_f64 v[23:24], |v[9:10]|, 0
	v_trig_preop_f64 v[21:22], |v[9:10]|, 1
	v_ldexp_f64 v[25:26], |v[9:10]|, 0xffffff80
	v_trig_preop_f64 v[17:18], |v[9:10]|, 2
	v_and_b32_e32 v30, 0x7fffffff, v10
	s_and_saveexec_b32 s5, s4
	s_xor_b32 s5, exec_lo, s5
	s_cbranch_execz .LBB5_44
; %bb.43:
	v_cmp_le_f64_e64 vcc_lo, 0x7b000000, |v[9:10]|
	v_mov_b32_e32 v41, 0
	s_mov_b32 s14, 0x54442d18
	s_mov_b32 s15, 0x3ff921fb
	;; [unrolled: 1-line block ×4, first 2 shown]
	v_cndmask_b32_e32 v12, v30, v26, vcc_lo
	v_cndmask_b32_e32 v11, v9, v25, vcc_lo
	v_mul_f64 v[13:14], v[23:24], v[11:12]
	v_mul_f64 v[15:16], v[21:22], v[11:12]
	;; [unrolled: 1-line block ×3, first 2 shown]
	v_fma_f64 v[19:20], v[23:24], v[11:12], -v[13:14]
	v_fma_f64 v[39:40], v[21:22], v[11:12], -v[15:16]
	;; [unrolled: 1-line block ×3, first 2 shown]
	v_add_f64 v[28:29], v[15:16], v[19:20]
	v_add_f64 v[31:32], v[28:29], -v[15:16]
	v_add_f64 v[35:36], v[13:14], v[28:29]
	v_add_f64 v[33:34], v[28:29], -v[31:32]
	v_add_f64 v[19:20], v[19:20], -v[31:32]
	v_ldexp_f64 v[31:32], v[35:36], -2
	v_add_f64 v[13:14], v[35:36], -v[13:14]
	v_add_f64 v[15:16], v[15:16], -v[33:34]
	v_add_f64 v[33:34], v[37:38], v[39:40]
	v_cmp_neq_f64_e64 vcc_lo, 0x7ff00000, |v[31:32]|
	v_add_f64 v[13:14], v[28:29], -v[13:14]
	v_add_f64 v[15:16], v[19:20], v[15:16]
	v_fract_f64_e32 v[19:20], v[31:32]
	v_add_f64 v[28:29], v[33:34], v[15:16]
	v_ldexp_f64 v[19:20], v[19:20], 2
	v_add_f64 v[31:32], v[13:14], v[28:29]
	v_cndmask_b32_e32 v20, 0, v20, vcc_lo
	v_cndmask_b32_e32 v19, 0, v19, vcc_lo
	v_add_f64 v[35:36], v[31:32], v[19:20]
	v_add_f64 v[13:14], v[31:32], -v[13:14]
	v_cmp_gt_f64_e32 vcc_lo, 0, v[35:36]
	v_add_f64 v[35:36], v[33:34], -v[37:38]
	v_add_f64 v[13:14], v[28:29], -v[13:14]
	v_cndmask_b32_e64 v42, 0, 0x40100000, vcc_lo
	v_add_f64 v[46:47], v[33:34], -v[35:36]
	v_add_f64 v[35:36], v[39:40], -v[35:36]
	v_add_f64 v[19:20], v[19:20], v[41:42]
	v_add_f64 v[42:43], v[28:29], -v[33:34]
	v_add_f64 v[39:40], v[37:38], -v[46:47]
	v_add_f64 v[44:45], v[31:32], v[19:20]
	v_add_f64 v[48:49], v[28:29], -v[42:43]
	v_add_f64 v[15:16], v[15:16], -v[42:43]
	v_add_f64 v[35:36], v[35:36], v[39:40]
	v_cvt_i32_f64_e32 v44, v[44:45]
	v_add_f64 v[33:34], v[33:34], -v[48:49]
	v_cvt_f64_i32_e32 v[42:43], v44
	v_add_f64 v[15:16], v[15:16], v[33:34]
	v_add_f64 v[19:20], v[19:20], -v[42:43]
	v_add_f64 v[15:16], v[35:36], v[15:16]
	v_add_f64 v[33:34], v[31:32], v[19:20]
	;; [unrolled: 1-line block ×3, first 2 shown]
	v_add_f64 v[15:16], v[33:34], -v[19:20]
	v_cmp_le_f64_e32 vcc_lo, 0.5, v[33:34]
	v_add_f64 v[11:12], v[13:14], v[11:12]
	v_add_f64 v[13:14], v[31:32], -v[15:16]
	v_cndmask_b32_e64 v42, 0, 0x3ff00000, vcc_lo
	v_add_co_ci_u32_e64 v28, null, 0, v44, vcc_lo
	v_add_f64 v[11:12], v[11:12], v[13:14]
	v_add_f64 v[13:14], v[33:34], -v[41:42]
	v_add_f64 v[15:16], v[13:14], v[11:12]
	v_mul_f64 v[19:20], v[15:16], s[14:15]
	v_add_f64 v[13:14], v[15:16], -v[13:14]
	v_fma_f64 v[31:32], v[15:16], s[14:15], -v[19:20]
	v_add_f64 v[11:12], v[11:12], -v[13:14]
	v_fma_f64 v[13:14], v[15:16], s[16:17], v[31:32]
	v_fma_f64 v[13:14], v[11:12], s[14:15], v[13:14]
	v_add_f64 v[11:12], v[19:20], v[13:14]
	v_add_f64 v[15:16], v[11:12], -v[19:20]
	v_add_f64 v[13:14], v[13:14], -v[15:16]
	s_andn2_saveexec_b32 s5, s5
	s_cbranch_execz .LBB5_46
	s_branch .LBB5_45
.LBB5_44:
	s_andn2_saveexec_b32 s5, s5
	s_cbranch_execz .LBB5_46
.LBB5_45:
	s_mov_b32 s14, 0x6dc9c883
	s_mov_b32 s15, 0x3fe45f30
	;; [unrolled: 1-line block ×3, first 2 shown]
	v_mul_f64 v[11:12], |v[9:10]|, s[14:15]
	s_mov_b32 s14, 0x54442d18
	s_mov_b32 s15, 0xbff921fb
	;; [unrolled: 1-line block ×3, first 2 shown]
	v_rndne_f64_e32 v[15:16], v[11:12]
	v_fma_f64 v[11:12], v[15:16], s[14:15], |v[9:10]|
	v_mul_f64 v[13:14], v[15:16], s[16:17]
	s_mov_b32 s14, 0x252049c0
	s_mov_b32 s15, 0xb97b839a
	v_fma_f64 v[28:29], v[15:16], s[16:17], v[11:12]
	v_add_f64 v[19:20], v[11:12], v[13:14]
	s_mov_b32 s17, 0x3c91a626
	v_add_f64 v[11:12], v[11:12], -v[19:20]
	v_add_f64 v[19:20], v[19:20], -v[28:29]
	v_add_f64 v[11:12], v[11:12], v[13:14]
	v_fma_f64 v[13:14], v[15:16], s[16:17], v[13:14]
	v_add_f64 v[11:12], v[19:20], v[11:12]
	v_add_f64 v[11:12], v[11:12], -v[13:14]
	v_fma_f64 v[13:14], v[15:16], s[14:15], v[11:12]
	v_add_f64 v[11:12], v[28:29], v[13:14]
	v_add_f64 v[19:20], v[11:12], -v[28:29]
	v_cvt_i32_f64_e32 v28, v[15:16]
	v_add_f64 v[13:14], v[13:14], -v[19:20]
.LBB5_46:
	s_or_b32 exec_lo, exec_lo, s5
                                        ; implicit-def: $vgpr29
                                        ; implicit-def: $vgpr15_vgpr16
                                        ; implicit-def: $vgpr19_vgpr20
	s_and_saveexec_b32 s5, s4
	s_xor_b32 s4, exec_lo, s5
	s_cbranch_execz .LBB5_48
; %bb.47:
	v_cmp_le_f64_e64 vcc_lo, 0x7b000000, |v[9:10]|
	v_mov_b32_e32 v39, 0
	s_mov_b32 s14, 0x54442d18
	s_mov_b32 s15, 0x3ff921fb
	;; [unrolled: 1-line block ×4, first 2 shown]
	v_cndmask_b32_e32 v16, v30, v26, vcc_lo
	v_cndmask_b32_e32 v15, v9, v25, vcc_lo
	v_mul_f64 v[19:20], v[23:24], v[15:16]
	v_mul_f64 v[25:26], v[21:22], v[15:16]
	;; [unrolled: 1-line block ×3, first 2 shown]
	v_fma_f64 v[23:24], v[23:24], v[15:16], -v[19:20]
	v_fma_f64 v[21:22], v[21:22], v[15:16], -v[25:26]
	;; [unrolled: 1-line block ×3, first 2 shown]
	v_add_f64 v[29:30], v[25:26], v[23:24]
	v_add_f64 v[31:32], v[29:30], -v[25:26]
	v_add_f64 v[35:36], v[19:20], v[29:30]
	v_add_f64 v[33:34], v[29:30], -v[31:32]
	v_add_f64 v[23:24], v[23:24], -v[31:32]
	v_ldexp_f64 v[31:32], v[35:36], -2
	v_add_f64 v[19:20], v[35:36], -v[19:20]
	v_add_f64 v[25:26], v[25:26], -v[33:34]
	v_add_f64 v[33:34], v[37:38], v[21:22]
	v_cmp_neq_f64_e64 vcc_lo, 0x7ff00000, |v[31:32]|
	v_add_f64 v[19:20], v[29:30], -v[19:20]
	v_add_f64 v[23:24], v[23:24], v[25:26]
	v_fract_f64_e32 v[25:26], v[31:32]
	v_add_f64 v[29:30], v[33:34], v[23:24]
	v_ldexp_f64 v[25:26], v[25:26], 2
	v_add_f64 v[31:32], v[19:20], v[29:30]
	v_cndmask_b32_e32 v26, 0, v26, vcc_lo
	v_cndmask_b32_e32 v25, 0, v25, vcc_lo
	v_add_f64 v[35:36], v[31:32], v[25:26]
	v_add_f64 v[17:18], v[31:32], -v[19:20]
	v_cmp_gt_f64_e32 vcc_lo, 0, v[35:36]
	v_add_f64 v[35:36], v[33:34], -v[37:38]
	v_add_f64 v[17:18], v[29:30], -v[17:18]
	v_cndmask_b32_e64 v40, 0, 0x40100000, vcc_lo
	v_add_f64 v[44:45], v[33:34], -v[35:36]
	v_add_f64 v[21:22], v[21:22], -v[35:36]
	v_add_f64 v[25:26], v[25:26], v[39:40]
	v_add_f64 v[40:41], v[29:30], -v[33:34]
	v_add_f64 v[35:36], v[37:38], -v[44:45]
	v_add_f64 v[42:43], v[31:32], v[25:26]
	v_add_f64 v[46:47], v[29:30], -v[40:41]
	v_add_f64 v[23:24], v[23:24], -v[40:41]
	v_add_f64 v[21:22], v[21:22], v[35:36]
	v_cvt_i32_f64_e32 v42, v[42:43]
	v_add_f64 v[33:34], v[33:34], -v[46:47]
	v_cvt_f64_i32_e32 v[40:41], v42
	v_add_f64 v[23:24], v[23:24], v[33:34]
	v_add_f64 v[25:26], v[25:26], -v[40:41]
	v_add_f64 v[19:20], v[21:22], v[23:24]
	v_add_f64 v[21:22], v[31:32], v[25:26]
	;; [unrolled: 1-line block ×3, first 2 shown]
	v_add_f64 v[19:20], v[21:22], -v[25:26]
	v_cmp_le_f64_e32 vcc_lo, 0.5, v[21:22]
	v_add_f64 v[15:16], v[17:18], v[15:16]
	v_add_f64 v[17:18], v[31:32], -v[19:20]
	v_cndmask_b32_e64 v40, 0, 0x3ff00000, vcc_lo
	v_add_co_ci_u32_e64 v29, null, 0, v42, vcc_lo
	v_add_f64 v[15:16], v[15:16], v[17:18]
	v_add_f64 v[17:18], v[21:22], -v[39:40]
	v_add_f64 v[19:20], v[17:18], v[15:16]
	v_mul_f64 v[21:22], v[19:20], s[14:15]
	v_add_f64 v[17:18], v[19:20], -v[17:18]
	v_fma_f64 v[23:24], v[19:20], s[14:15], -v[21:22]
	v_add_f64 v[15:16], v[15:16], -v[17:18]
	v_fma_f64 v[17:18], v[19:20], s[16:17], v[23:24]
	v_fma_f64 v[17:18], v[15:16], s[14:15], v[17:18]
	v_add_f64 v[15:16], v[21:22], v[17:18]
	v_add_f64 v[19:20], v[15:16], -v[21:22]
	v_add_f64 v[19:20], v[17:18], -v[19:20]
	s_andn2_saveexec_b32 s4, s4
	s_cbranch_execnz .LBB5_49
	s_branch .LBB5_50
.LBB5_48:
	s_andn2_saveexec_b32 s4, s4
	s_cbranch_execz .LBB5_50
.LBB5_49:
	s_mov_b32 s14, 0x6dc9c883
	s_mov_b32 s15, 0x3fe45f30
	s_mov_b32 s17, 0xbc91a626
	v_mul_f64 v[15:16], |v[9:10]|, s[14:15]
	s_mov_b32 s14, 0x54442d18
	s_mov_b32 s15, 0xbff921fb
	;; [unrolled: 1-line block ×3, first 2 shown]
	v_rndne_f64_e32 v[17:18], v[15:16]
	v_fma_f64 v[15:16], v[17:18], s[14:15], |v[9:10]|
	v_mul_f64 v[19:20], v[17:18], s[16:17]
	s_mov_b32 s14, 0x252049c0
	s_mov_b32 s15, 0xb97b839a
	v_cvt_i32_f64_e32 v29, v[17:18]
	v_fma_f64 v[23:24], v[17:18], s[16:17], v[15:16]
	v_add_f64 v[21:22], v[15:16], v[19:20]
	s_mov_b32 s17, 0x3c91a626
	v_add_f64 v[15:16], v[15:16], -v[21:22]
	v_add_f64 v[21:22], v[21:22], -v[23:24]
	v_add_f64 v[15:16], v[15:16], v[19:20]
	v_fma_f64 v[19:20], v[17:18], s[16:17], v[19:20]
	v_add_f64 v[15:16], v[21:22], v[15:16]
	v_add_f64 v[15:16], v[15:16], -v[19:20]
	v_fma_f64 v[19:20], v[17:18], s[14:15], v[15:16]
	v_add_f64 v[15:16], v[23:24], v[19:20]
	v_add_f64 v[21:22], v[15:16], -v[23:24]
	v_add_f64 v[19:20], v[19:20], -v[21:22]
.LBB5_50:
	s_or_b32 exec_lo, exec_lo, s4
	v_div_scale_f64 v[17:18], null, v[1:2], v[1:2], 0x40140000
	v_div_scale_f64 v[25:26], vcc_lo, 0x40140000, v[1:2], 0x40140000
	s_mov_b32 s4, 0x6b70ba40
	s_mov_b32 s5, 0x3faa27fa
	;; [unrolled: 1-line block ×8, first 2 shown]
	v_mul_f64 v[36:37], v[15:16], v[15:16]
	v_mul_f64 v[48:49], v[11:12], v[11:12]
	s_mov_b32 s22, 0x9037ab78
	s_mov_b32 s24, 0x46cc5e42
	;; [unrolled: 1-line block ×6, first 2 shown]
	v_mul_f64 v[58:59], v[19:20], 0.5
	v_mul_f64 v[74:75], v[13:14], 0.5
	v_rcp_f64_e32 v[21:22], v[17:18]
	v_mul_f64 v[50:51], v[36:37], 0.5
	v_fma_f64 v[52:53], v[36:37], s[24:25], s[22:23]
	v_fma_f64 v[60:61], v[48:49], s[24:25], s[22:23]
	v_mul_f64 v[62:63], v[48:49], 0.5
	v_mul_f64 v[64:65], v[15:16], -v[36:37]
	v_mul_f64 v[76:77], v[11:12], -v[48:49]
	v_mul_f64 v[80:81], v[36:37], v[36:37]
	v_fma_f64 v[23:24], -v[17:18], v[21:22], 1.0
	v_fma_f64 v[21:22], v[21:22], v[23:24], v[21:22]
	v_fma_f64 v[23:24], -v[17:18], v[21:22], 1.0
	v_fma_f64 v[21:22], v[21:22], v[23:24], v[21:22]
	v_mul_f64 v[23:24], v[25:26], v[21:22]
	v_fma_f64 v[17:18], -v[17:18], v[23:24], v[25:26]
	v_div_fmas_f64 v[17:18], v[17:18], v[21:22], v[23:24]
	v_div_fixup_f64 v[17:18], v[17:18], v[1:2], 0x40140000
	v_mul_f64 v[21:22], v[17:18], v[17:18]
	v_fma_f64 v[23:24], v[21:22], 0, s[4:5]
	s_mov_b32 s4, 0x4c6c651b
	s_mov_b32 s5, 0x3f48f92c
	v_fma_f64 v[25:26], v[21:22], 0, s[14:15]
	v_fma_f64 v[30:31], v[21:22], 0, s[4:5]
	v_fma_f64 v[32:33], v[21:22], 0, s[18:19]
	s_mov_b32 s4, 0xa3fec4b6
	s_mov_b32 s14, 0x5948aa83
	s_mov_b32 s5, 0x3fb2b948
	s_mov_b32 s15, 0x3fb19fdd
	s_mov_b32 s18, 0xa20e5f6f
	s_mov_b32 s19, 0x409081cb
	v_fma_f64 v[23:24], v[21:22], v[23:24], s[16:17]
	s_mov_b32 s16, 0x9acf1c67
	s_mov_b32 s17, 0x4052f4b9
	v_fma_f64 v[25:26], v[21:22], v[25:26], s[14:15]
	v_fma_f64 v[30:31], v[21:22], v[30:31], s[4:5]
	v_fma_f64 v[32:33], v[21:22], v[32:33], s[18:19]
	s_mov_b32 s4, 0xc21596d6
	s_mov_b32 s14, 0xb850eed6
	s_mov_b32 s5, 0x3ff208fe
	s_mov_b32 s15, 0x3ff1aea9
	s_mov_b32 s18, 0x1bfdfe81
	s_mov_b32 s19, 0x40b37a69
	v_fma_f64 v[23:24], v[21:22], v[23:24], s[16:17]
	s_mov_b32 s16, 0x47aa180d
	s_mov_b32 s17, 0x4076ec79
	v_fma_f64 v[25:26], v[21:22], v[25:26], s[14:15]
	v_fma_f64 v[30:31], v[21:22], v[30:31], s[4:5]
	v_fma_f64 v[32:33], v[21:22], v[32:33], s[18:19]
	s_mov_b32 s4, 0xf8b13a6a
	s_mov_b32 s14, 0xf7d251a1
	s_mov_b32 s5, 0x401472c4
	s_mov_b32 s15, 0x40144ba2
	s_mov_b32 s18, 0xd280d118
	s_mov_b32 s19, 0x40c2ad28
	v_fma_f64 v[23:24], v[21:22], v[23:24], s[16:17]
	s_mov_b32 s16, 0xb66f6e50
	s_mov_b32 s17, 0x408636d9
	v_fma_f64 v[25:26], v[21:22], v[25:26], s[14:15]
	v_fma_f64 v[30:31], v[21:22], v[30:31], s[4:5]
	v_fma_f64 v[32:33], v[21:22], v[32:33], s[18:19]
	s_mov_b32 s4, 0x8b5d2f16
	s_mov_b32 s14, 0xdda2fd65
	s_mov_b32 s5, 0x4020d91c
	s_mov_b32 s15, 0x4020ccb9
	s_mov_b32 s18, 0xa6973d14
	s_mov_b32 s19, 0x40bf3d0a
	v_fma_f64 v[23:24], v[21:22], v[23:24], s[16:17]
	s_mov_b32 s16, 0xb9e802d0
	s_mov_b32 s17, 0x4082abea
	v_fma_f64 v[25:26], v[21:22], v[25:26], s[14:15]
	v_fma_f64 v[30:31], v[21:22], v[30:31], s[4:5]
	v_fma_f64 v[32:33], v[21:22], v[32:33], s[18:19]
	s_mov_b32 s4, 0x142f81a2
	s_mov_b32 s14, 0x4762b4d9
	s_mov_b32 s5, 0x4014dbaa
	s_mov_b32 s15, 0x4014d6dd
	s_mov_b32 s18, 0xb4bd1781
	s_mov_b32 s19, 0x40a61462
	v_fma_f64 v[23:24], v[21:22], v[23:24], s[16:17]
	s_mov_b32 s16, 0x4c54bb0b
	s_mov_b32 s17, 0x406a760a
	v_fma_f64 v[25:26], v[21:22], v[25:26], s[14:15]
	v_fma_f64 v[30:31], v[21:22], v[30:31], s[4:5]
	v_fma_f64 v[32:33], v[21:22], v[32:33], s[18:19]
	s_mov_b32 s4, 0x4d159eb5
	s_mov_b32 s14, 0x6ae75997
	s_mov_b32 s5, 0x403934ff
	s_mov_b32 s15, 0x4075017f
	s_mov_b32 s18, 0x796cde01
	s_mov_b32 s19, 0x3ec71de3
	v_fma_f64 v[23:24], v[21:22], v[23:24], s[16:17]
	s_mov_b32 s16, 0xf9a43bb8
	s_mov_b32 s17, 0x3de5e0b2
	v_fma_f64 v[25:26], v[21:22], v[25:26], 1.0
	v_fma_f64 v[30:31], v[21:22], v[30:31], 1.0
	v_fma_f64 v[32:33], v[21:22], v[32:33], s[14:15]
	s_mov_b32 s14, 0xb42fdfa7
	s_mov_b32 s15, 0xbe5ae600
	v_fma_f64 v[42:43], v[36:37], s[16:17], s[14:15]
	v_fma_f64 v[21:22], v[21:22], v[23:24], s[4:5]
	v_cmp_gt_f64_e64 s4, 0x10000000, v[1:2]
	v_div_scale_f64 v[23:24], null, v[25:26], v[25:26], v[30:31]
	v_div_scale_f64 v[70:71], vcc_lo, v[30:31], v[25:26], v[30:31]
	v_fma_f64 v[42:43], v[36:37], v[42:43], s[18:19]
	v_div_scale_f64 v[34:35], null, v[32:33], v[32:33], v[21:22]
	v_rcp_f64_e32 v[38:39], v[23:24]
	v_fma_f64 v[42:43], v[36:37], v[42:43], s[26:27]
	v_rcp_f64_e32 v[40:41], v[34:35]
	v_fma_f64 v[44:45], -v[23:24], v[38:39], 1.0
	v_fma_f64 v[46:47], -v[34:35], v[40:41], 1.0
	v_fma_f64 v[38:39], v[38:39], v[44:45], v[38:39]
	v_fma_f64 v[44:45], v[48:49], s[16:17], s[14:15]
	s_mov_b32 s14, 0xa17f65f6
	s_mov_b32 s15, 0xbe927e4f
	;; [unrolled: 1-line block ×3, first 2 shown]
	v_fma_f64 v[52:53], v[36:37], v[52:53], s[14:15]
	s_mov_b32 s17, 0x3f811111
	v_fma_f64 v[42:43], v[36:37], v[42:43], s[16:17]
	v_fma_f64 v[40:41], v[40:41], v[46:47], v[40:41]
	v_cndmask_b32_e64 v46, 0, 0x100, s4
	v_fma_f64 v[54:55], -v[23:24], v[38:39], 1.0
	v_fma_f64 v[44:45], v[48:49], v[44:45], s[18:19]
	v_ldexp_f64 v[1:2], v[1:2], v46
	v_add_f64 v[46:47], -v[50:51], 1.0
	s_mov_b32 s18, 0x19f4ec90
	s_mov_b32 s19, 0x3efa01a0
	v_fma_f64 v[52:53], v[36:37], v[52:53], s[18:19]
	v_fma_f64 v[42:43], v[64:65], v[42:43], v[58:59]
	v_fma_f64 v[56:57], -v[34:35], v[40:41], 1.0
	v_fma_f64 v[38:39], v[38:39], v[54:55], v[38:39]
	v_div_scale_f64 v[54:55], s5, v[21:22], v[32:33], v[21:22]
	v_add_f64 v[68:69], -v[46:47], 1.0
	v_rsq_f64_e32 v[66:67], v[1:2]
	v_fma_f64 v[44:45], v[48:49], v[44:45], s[26:27]
	v_fma_f64 v[42:43], v[36:37], v[42:43], -v[19:20]
	v_fma_f64 v[40:41], v[40:41], v[56:57], v[40:41]
	v_fma_f64 v[56:57], v[48:49], v[60:61], s[14:15]
	v_add_f64 v[60:61], -v[62:63], 1.0
	s_mov_b32 s14, 0x16c16967
	s_mov_b32 s15, 0xbf56c16c
	v_fma_f64 v[52:53], v[36:37], v[52:53], s[14:15]
	v_add_f64 v[50:51], v[68:69], -v[50:51]
	v_mul_f64 v[68:69], v[70:71], v[38:39]
	v_fma_f64 v[44:45], v[48:49], v[44:45], s[16:17]
	v_mul_f64 v[58:59], v[1:2], v[66:67]
	v_mul_f64 v[66:67], v[66:67], 0.5
	s_mov_b32 s16, 0x55555555
	s_mov_b32 s17, 0x3fa55555
	v_mul_f64 v[72:73], v[54:55], v[40:41]
	v_fma_f64 v[56:57], v[48:49], v[56:57], s[18:19]
	v_add_f64 v[78:79], -v[60:61], 1.0
	s_mov_b32 s19, 0xbfc55555
	s_mov_b32 s18, s16
	v_fma_f64 v[36:37], v[36:37], v[52:53], s[16:17]
	v_fma_f64 v[19:20], v[15:16], -v[19:20], v[50:51]
	v_fma_f64 v[23:24], -v[23:24], v[68:69], v[70:71]
	v_fma_f64 v[44:45], v[76:77], v[44:45], v[74:75]
	v_fma_f64 v[42:43], v[64:65], s[18:19], v[42:43]
	v_fma_f64 v[82:83], -v[66:67], v[58:59], 0.5
	v_fma_f64 v[34:35], -v[34:35], v[72:73], v[54:55]
	v_fma_f64 v[50:51], v[48:49], v[56:57], s[14:15]
	v_add_f64 v[52:53], v[78:79], -v[62:63]
	v_fma_f64 v[19:20], v[80:81], v[36:37], v[19:20]
	v_div_fmas_f64 v[23:24], v[23:24], v[38:39], v[68:69]
	s_mov_b32 vcc_lo, s5
	v_mul_f64 v[36:37], v[48:49], v[48:49]
	v_fma_f64 v[54:55], v[58:59], v[82:83], v[58:59]
	v_add_f64 v[15:16], v[15:16], -v[42:43]
	v_fma_f64 v[42:43], v[66:67], v[82:83], v[66:67]
	v_div_fmas_f64 v[34:35], v[34:35], v[40:41], v[72:73]
	v_fma_f64 v[38:39], v[48:49], v[50:51], s[16:17]
	v_fma_f64 v[40:41], v[11:12], -v[13:14], v[52:53]
	v_fma_f64 v[13:14], v[48:49], v[44:45], -v[13:14]
	v_add_f64 v[19:20], v[46:47], v[19:20]
	v_fma_f64 v[44:45], -v[54:55], v[54:55], v[1:2]
	v_xor_b32_e32 v16, 0x80000000, v16
	v_div_fixup_f64 v[21:22], v[34:35], v[32:33], v[21:22]
	v_and_b32_e32 v34, 1, v29
	v_fma_f64 v[32:33], v[36:37], v[38:39], v[40:41]
	v_fma_f64 v[13:14], v[76:77], s[18:19], v[13:14]
	v_cmp_eq_u32_e32 vcc_lo, 0, v34
	v_fma_f64 v[34:35], v[44:45], v[42:43], v[54:55]
	v_cndmask_b32_e32 v20, v16, v20, vcc_lo
	v_cndmask_b32_e32 v19, v15, v19, vcc_lo
	v_cmp_class_f64_e64 vcc_lo, v[9:10], 0x1f8
	v_lshlrev_b32_e32 v9, 30, v29
	v_and_b32_e32 v9, 0x80000000, v9
	v_mul_f64 v[15:16], v[17:18], v[21:22]
	v_lshlrev_b32_e32 v21, 30, v28
	v_add_f64 v[17:18], v[60:61], v[32:33]
	v_add_f64 v[11:12], v[11:12], -v[13:14]
	v_xor_b32_e32 v9, v20, v9
	v_xor_b32_e32 v21, v21, v10
	v_fma_f64 v[13:14], -v[34:35], v[34:35], v[1:2]
	v_cndmask_b32_e32 v19, 0, v19, vcc_lo
	v_cndmask_b32_e32 v20, 0x7ff80000, v9, vcc_lo
	v_div_fixup_f64 v[9:10], v[23:24], v[25:26], v[30:31]
	v_mul_f64 v[15:16], v[15:16], v[19:20]
	v_and_b32_e32 v19, 1, v28
	v_and_b32_e32 v20, 0x80000000, v21
	v_cmp_eq_u32_e64 s5, 0, v19
	v_cndmask_b32_e64 v12, v18, v12, s5
	v_cndmask_b32_e64 v17, v17, v11, s5
	v_xor_b32_e32 v18, v12, v20
	v_fma_f64 v[11:12], v[13:14], v[42:43], v[34:35]
	v_cndmask_b32_e32 v13, 0, v17, vcc_lo
	v_cndmask_b32_e32 v14, 0x7ff80000, v18, vcc_lo
	v_cmp_class_f64_e64 vcc_lo, v[1:2], 0x260
	v_fma_f64 v[9:10], v[9:10], v[13:14], v[15:16]
	v_cndmask_b32_e64 v13, 0, 0xffffff80, s4
	s_mov_b32 s4, 0x33d43651
	s_mov_b32 s5, 0x3fe98845
	v_ldexp_f64 v[11:12], v[11:12], v13
	v_mul_f64 v[9:10], v[9:10], s[4:5]
	v_cndmask_b32_e32 v2, v12, v2, vcc_lo
	v_cndmask_b32_e32 v1, v11, v1, vcc_lo
	v_div_scale_f64 v[11:12], null, v[1:2], v[1:2], v[9:10]
	v_rcp_f64_e32 v[13:14], v[11:12]
	v_fma_f64 v[15:16], -v[11:12], v[13:14], 1.0
	v_fma_f64 v[13:14], v[13:14], v[15:16], v[13:14]
	v_fma_f64 v[15:16], -v[11:12], v[13:14], 1.0
	v_fma_f64 v[13:14], v[13:14], v[15:16], v[13:14]
	v_div_scale_f64 v[15:16], vcc_lo, v[9:10], v[1:2], v[9:10]
	v_mul_f64 v[17:18], v[15:16], v[13:14]
	v_fma_f64 v[11:12], -v[11:12], v[17:18], v[15:16]
	v_div_fmas_f64 v[11:12], v[11:12], v[13:14], v[17:18]
	v_div_fixup_f64 v[9:10], v[11:12], v[1:2], v[9:10]
.LBB5_51:
	s_or_b32 exec_lo, exec_lo, s7
	s_mov_b32 s4, exec_lo
	v_cmpx_ge_f64_e32 0x40140000, v[3:4]
	s_xor_b32 s7, exec_lo, s4
	s_cbranch_execz .LBB5_57
; %bb.52:
	v_mov_b32_e32 v11, 0
	v_mov_b32_e32 v12, 0xfff00000
	s_mov_b32 s14, exec_lo
	v_cmpx_neq_f64_e32 0, v[3:4]
	s_cbranch_execz .LBB5_56
; %bb.53:
	v_mov_b32_e32 v11, 0
	v_mov_b32_e32 v12, 0x7ff80000
	s_mov_b32 s15, exec_lo
	v_cmpx_nge_f64_e32 0, v[3:4]
	s_cbranch_execz .LBB5_55
; %bb.54:
	v_frexp_mant_f64_e32 v[1:2], v[3:4]
	s_mov_b32 s5, 0x3fe55555
	s_mov_b32 s4, 0x55555555
	;; [unrolled: 1-line block ×8, first 2 shown]
	v_frexp_exp_i32_f64_e32 v32, v[3:4]
	s_mov_b32 s24, 0xfefa39ef
	s_mov_b32 s25, 0x3fe62e42
	v_cmp_gt_f64_e32 vcc_lo, s[4:5], v[1:2]
	s_mov_b32 s4, 0x55555780
	v_cndmask_b32_e64 v11, 0, 1, vcc_lo
	v_ldexp_f64 v[1:2], v[1:2], v11
	v_add_f64 v[11:12], v[1:2], 1.0
	v_add_f64 v[17:18], v[1:2], -1.0
	v_rcp_f64_e32 v[13:14], v[11:12]
	v_add_f64 v[19:20], v[11:12], -1.0
	v_add_f64 v[1:2], v[1:2], -v[19:20]
	v_fma_f64 v[15:16], -v[11:12], v[13:14], 1.0
	v_fma_f64 v[13:14], v[15:16], v[13:14], v[13:14]
	v_fma_f64 v[15:16], -v[11:12], v[13:14], 1.0
	v_fma_f64 v[13:14], v[15:16], v[13:14], v[13:14]
	v_mul_f64 v[15:16], v[17:18], v[13:14]
	v_mul_f64 v[21:22], v[11:12], v[15:16]
	v_fma_f64 v[11:12], v[15:16], v[11:12], -v[21:22]
	v_fma_f64 v[1:2], v[15:16], v[1:2], v[11:12]
	v_add_f64 v[11:12], v[21:22], v[1:2]
	v_add_f64 v[19:20], v[17:18], -v[11:12]
	v_add_f64 v[21:22], v[11:12], -v[21:22]
	;; [unrolled: 1-line block ×5, first 2 shown]
	v_add_f64 v[1:2], v[1:2], v[11:12]
	v_add_f64 v[1:2], v[19:20], v[1:2]
	v_mul_f64 v[19:20], v[3:4], v[3:4]
	v_mul_f64 v[1:2], v[13:14], v[1:2]
	v_add_f64 v[11:12], v[15:16], v[1:2]
	v_mul_f64 v[13:14], v[11:12], v[11:12]
	v_ldexp_f64 v[30:31], v[11:12], 1
	v_fma_f64 v[17:18], v[13:14], s[18:19], s[16:17]
	s_mov_b32 s16, 0xd7f4df2e
	s_mov_b32 s17, 0x3fc7474d
	;; [unrolled: 1-line block ×4, first 2 shown]
	v_mul_f64 v[28:29], v[11:12], v[13:14]
	v_fma_f64 v[23:24], v[19:20], 0, s[18:19]
	s_mov_b32 s18, 0xdd701b2
	s_mov_b32 s19, 0x410f5eda
	v_add_f64 v[11:12], v[11:12], -v[15:16]
	v_fma_f64 v[17:18], v[13:14], v[17:18], s[16:17]
	s_mov_b32 s16, 0xa93f7ac2
	s_mov_b32 s17, 0x40829269
	v_fma_f64 v[21:22], v[19:20], 0, s[16:17]
	s_mov_b32 s16, 0x16291751
	s_mov_b32 s17, 0x3fcc71c0
	;; [unrolled: 3-line block ×3, first 2 shown]
	v_add_f64 v[1:2], v[1:2], -v[11:12]
	v_fma_f64 v[17:18], v[13:14], v[17:18], s[16:17]
	s_mov_b32 s16, 0xbe58ef7f
	s_mov_b32 s17, 0x410cc160
	v_fma_f64 v[21:22], v[19:20], v[21:22], s[16:17]
	s_mov_b32 s16, 0x9b27acf1
	s_mov_b32 s17, 0x3fd24924
	;; [unrolled: 3-line block ×3, first 2 shown]
	v_ldexp_f64 v[1:2], v[1:2], 1
	v_fma_f64 v[17:18], v[13:14], v[17:18], s[16:17]
	s_mov_b32 s16, 0x62f9b6c5
	s_mov_b32 s17, 0x41d2d2be
	v_fma_f64 v[25:26], v[19:20], 0, s[16:17]
	v_fma_f64 v[21:22], v[19:20], v[21:22], s[18:19]
	s_mov_b32 s16, 0x998ef7b6
	s_mov_b32 s17, 0x3fd99999
	;; [unrolled: 1-line block ×4, first 2 shown]
	v_fma_f64 v[23:24], v[19:20], v[23:24], s[22:23]
	s_mov_b32 s22, 0x8076ffa8
	s_mov_b32 s23, 0x429146fb
	v_fma_f64 v[17:18], v[13:14], v[17:18], s[16:17]
	s_mov_b32 s16, 0x58836521
	s_mov_b32 s17, 0xc262d72d
	v_fma_f64 v[25:26], v[19:20], v[25:26], s[16:17]
	v_fma_f64 v[21:22], v[19:20], v[21:22], s[18:19]
	s_mov_b32 s16, 0xfda99316
	s_mov_b32 s18, 0x4cda4fc5
	;; [unrolled: 1-line block ×4, first 2 shown]
	v_fma_f64 v[23:24], v[19:20], v[23:24], s[22:23]
	s_mov_b32 s22, 0x3eccf45f
	s_mov_b32 s23, 0x43064b0a
	v_fma_f64 v[13:14], v[13:14], v[17:18], s[4:5]
	s_mov_b32 s4, 0xb0910fef
	s_mov_b32 s5, 0x42da0954
	v_fma_f64 v[17:18], v[19:20], v[25:26], s[4:5]
	v_fma_f64 v[21:22], v[19:20], v[21:22], s[16:17]
	;; [unrolled: 1-line block ×3, first 2 shown]
	s_mov_b32 s4, 0x37a1b083
	s_mov_b32 s16, 0xd71d1e4e
	s_mov_b32 s18, 0xd438c6b
	s_mov_b32 s5, 0xc33ce01a
	s_mov_b32 s17, 0x4301a326
	s_mov_b32 s19, 0x425a52ba
	v_fma_f64 v[23:24], v[19:20], v[23:24], s[22:23]
	s_mov_b32 s22, 0xf4653f81
	s_mov_b32 s23, 0x4373e0bf
	v_mul_f64 v[13:14], v[28:29], v[13:14]
	v_subrev_co_ci_u32_e64 v28, null, 0, v32, vcc_lo
	v_fma_f64 v[17:18], v[19:20], v[17:18], s[4:5]
	v_fma_f64 v[21:22], v[19:20], v[21:22], s[16:17]
	;; [unrolled: 1-line block ×3, first 2 shown]
	v_cvt_f64_i32_e32 v[28:29], v28
	s_mov_b32 s4, 0xb7366b1
	s_mov_b32 s16, 0xc547a488
	;; [unrolled: 1-line block ×6, first 2 shown]
	v_fma_f64 v[23:24], v[19:20], v[23:24], s[22:23]
	s_mov_b32 s22, 0xa697c482
	s_mov_b32 s23, 0x432a2b42
	v_add_f64 v[15:16], v[30:31], v[13:14]
	v_fma_f64 v[17:18], v[19:20], v[17:18], s[4:5]
	v_fma_f64 v[21:22], v[19:20], v[21:22], s[16:17]
	;; [unrolled: 1-line block ×3, first 2 shown]
	v_mul_f64 v[32:33], v[28:29], s[24:25]
	s_mov_b32 s4, 0x90f6747f
	s_mov_b32 s16, 0x5dde2b17
	s_mov_b32 s18, 0x76702939
	s_mov_b32 s5, 0x43cb90f1
	s_mov_b32 s17, 0xc3a59e41
	s_mov_b32 s19, 0x43d27795
	v_add_f64 v[11:12], v[15:16], -v[30:31]
	v_fma_f64 v[17:18], v[19:20], v[17:18], s[16:17]
	v_fma_f64 v[21:22], v[19:20], v[21:22], s[4:5]
	;; [unrolled: 1-line block ×4, first 2 shown]
	v_fma_f64 v[23:24], v[28:29], s[24:25], -v[32:33]
	s_mov_b32 s4, 0x3b39803f
	s_mov_b32 s5, 0x3c7abc9e
	v_add_f64 v[11:12], v[13:14], -v[11:12]
	v_div_scale_f64 v[13:14], null, v[21:22], v[21:22], v[17:18]
	v_div_scale_f64 v[30:31], null, v[19:20], v[19:20], v[25:26]
	v_fma_f64 v[23:24], v[28:29], s[4:5], v[23:24]
	v_add_f64 v[1:2], v[1:2], v[11:12]
	v_rcp_f64_e32 v[11:12], v[13:14]
	v_rcp_f64_e32 v[28:29], v[30:31]
	v_add_f64 v[34:35], v[32:33], v[23:24]
	v_add_f64 v[36:37], v[15:16], v[1:2]
	v_fma_f64 v[38:39], -v[13:14], v[11:12], 1.0
	v_fma_f64 v[40:41], -v[30:31], v[28:29], 1.0
	v_add_f64 v[32:33], v[34:35], -v[32:33]
	v_add_f64 v[42:43], v[34:35], v[36:37]
	v_add_f64 v[15:16], v[36:37], -v[15:16]
	v_fma_f64 v[11:12], v[11:12], v[38:39], v[11:12]
	v_fma_f64 v[28:29], v[28:29], v[40:41], v[28:29]
	v_div_scale_f64 v[40:41], null, v[3:4], v[3:4], -1.0
	v_add_f64 v[23:24], v[23:24], -v[32:33]
	v_div_scale_f64 v[32:33], vcc_lo, v[17:18], v[21:22], v[17:18]
	v_add_f64 v[38:39], v[42:43], -v[34:35]
	v_add_f64 v[1:2], v[1:2], -v[15:16]
	v_fma_f64 v[44:45], -v[13:14], v[11:12], 1.0
	v_fma_f64 v[46:47], -v[30:31], v[28:29], 1.0
	v_rcp_f64_e32 v[50:51], v[40:41]
	v_add_f64 v[48:49], v[42:43], -v[38:39]
	v_add_f64 v[15:16], v[36:37], -v[38:39]
	v_fma_f64 v[11:12], v[11:12], v[44:45], v[11:12]
	v_div_scale_f64 v[44:45], s4, v[25:26], v[19:20], v[25:26]
	v_fma_f64 v[28:29], v[28:29], v[46:47], v[28:29]
	v_fma_f64 v[36:37], -v[40:41], v[50:51], 1.0
	v_add_f64 v[34:35], v[34:35], -v[48:49]
	v_add_f64 v[48:49], v[23:24], v[1:2]
	v_mul_f64 v[38:39], v[32:33], v[11:12]
	v_mul_f64 v[46:47], v[44:45], v[28:29]
	v_add_f64 v[15:16], v[15:16], v[34:35]
	v_fma_f64 v[34:35], v[50:51], v[36:37], v[50:51]
	v_fma_f64 v[13:14], -v[13:14], v[38:39], v[32:33]
	v_add_f64 v[32:33], v[48:49], -v[23:24]
	v_fma_f64 v[30:31], -v[30:31], v[46:47], v[44:45]
	v_add_f64 v[15:16], v[48:49], v[15:16]
	v_fma_f64 v[36:37], -v[40:41], v[34:35], 1.0
	v_div_fmas_f64 v[11:12], v[13:14], v[11:12], v[38:39]
	s_mov_b32 vcc_lo, s4
	v_add_f64 v[1:2], v[1:2], -v[32:33]
	v_div_fmas_f64 v[13:14], v[30:31], v[28:29], v[46:47]
	v_add_f64 v[28:29], v[48:49], -v[32:33]
	v_div_scale_f64 v[38:39], vcc_lo, -1.0, v[3:4], -1.0
	s_mov_b32 s4, 0x4189822c
	s_mov_b32 s5, 0xc02d5d2b
	v_add_f64 v[30:31], v[42:43], v[15:16]
	v_fma_f64 v[34:35], v[34:35], v[36:37], v[34:35]
	v_div_fixup_f64 v[11:12], v[11:12], v[21:22], v[17:18]
	v_div_fixup_f64 v[13:14], v[13:14], v[19:20], v[25:26]
	v_add_f64 v[19:20], v[23:24], -v[28:29]
	v_fma_f64 v[28:29], v[3:4], v[3:4], s[4:5]
	s_mov_b32 s4, 0x6072a432
	s_mov_b32 s5, 0xc0489bf6
	v_add_f64 v[23:24], v[30:31], -v[42:43]
	v_mul_f64 v[25:26], v[38:39], v[34:35]
	v_mul_f64 v[13:14], v[3:4], v[13:14]
	v_add_f64 v[1:2], v[1:2], v[19:20]
	v_add_f64 v[15:16], v[15:16], -v[23:24]
	v_fma_f64 v[19:20], -v[40:41], v[25:26], v[38:39]
	v_fma_f64 v[23:24], v[3:4], v[3:4], s[4:5]
	s_mov_b32 s4, 0x6dc9c883
	s_mov_b32 s5, 0x3fe45f30
	v_mul_f64 v[13:14], v[28:29], v[13:14]
	v_add_f64 v[1:2], v[1:2], v[15:16]
	v_div_fmas_f64 v[15:16], v[19:20], v[34:35], v[25:26]
	v_mul_f64 v[13:14], v[23:24], v[13:14]
	v_add_f64 v[1:2], v[30:31], v[1:2]
	v_div_fixup_f64 v[15:16], v[15:16], v[3:4], -1.0
	v_fma_f64 v[1:2], v[13:14], v[1:2], v[15:16]
	v_mul_f64 v[1:2], v[1:2], s[4:5]
	v_fma_f64 v[11:12], v[3:4], v[11:12], v[1:2]
.LBB5_55:
	s_or_b32 exec_lo, exec_lo, s15
.LBB5_56:
	s_or_b32 exec_lo, exec_lo, s14
                                        ; implicit-def: $vgpr3_vgpr4
.LBB5_57:
	s_andn2_saveexec_b32 s7, s7
	s_cbranch_execz .LBB5_67
; %bb.58:
	s_mov_b32 s4, 0x7f3321d2
	s_mov_b32 s5, 0xc002d97c
                                        ; implicit-def: $vgpr28
                                        ; implicit-def: $vgpr11_vgpr12
                                        ; implicit-def: $vgpr13_vgpr14
	v_add_f64 v[1:2], v[3:4], s[4:5]
	v_cmp_ngt_f64_e64 s4, 0x41d00000, |v[1:2]|
	v_trig_preop_f64 v[23:24], |v[1:2]|, 0
	v_trig_preop_f64 v[21:22], |v[1:2]|, 1
	v_ldexp_f64 v[25:26], |v[1:2]|, 0xffffff80
	v_trig_preop_f64 v[17:18], |v[1:2]|, 2
	v_and_b32_e32 v30, 0x7fffffff, v2
	s_and_saveexec_b32 s5, s4
	s_xor_b32 s5, exec_lo, s5
	s_cbranch_execz .LBB5_60
; %bb.59:
	v_cmp_le_f64_e64 vcc_lo, 0x7b000000, |v[1:2]|
	v_mov_b32_e32 v41, 0
	s_mov_b32 s14, 0x54442d18
	s_mov_b32 s15, 0x3ff921fb
	;; [unrolled: 1-line block ×4, first 2 shown]
	v_cndmask_b32_e32 v12, v30, v26, vcc_lo
	v_cndmask_b32_e32 v11, v1, v25, vcc_lo
	v_mul_f64 v[13:14], v[23:24], v[11:12]
	v_mul_f64 v[15:16], v[21:22], v[11:12]
	;; [unrolled: 1-line block ×3, first 2 shown]
	v_fma_f64 v[19:20], v[23:24], v[11:12], -v[13:14]
	v_fma_f64 v[39:40], v[21:22], v[11:12], -v[15:16]
	;; [unrolled: 1-line block ×3, first 2 shown]
	v_add_f64 v[28:29], v[15:16], v[19:20]
	v_add_f64 v[31:32], v[28:29], -v[15:16]
	v_add_f64 v[35:36], v[13:14], v[28:29]
	v_add_f64 v[33:34], v[28:29], -v[31:32]
	v_add_f64 v[19:20], v[19:20], -v[31:32]
	v_ldexp_f64 v[31:32], v[35:36], -2
	v_add_f64 v[13:14], v[35:36], -v[13:14]
	v_add_f64 v[15:16], v[15:16], -v[33:34]
	v_add_f64 v[33:34], v[37:38], v[39:40]
	v_cmp_neq_f64_e64 vcc_lo, 0x7ff00000, |v[31:32]|
	v_add_f64 v[13:14], v[28:29], -v[13:14]
	v_add_f64 v[15:16], v[19:20], v[15:16]
	v_fract_f64_e32 v[19:20], v[31:32]
	v_add_f64 v[28:29], v[33:34], v[15:16]
	v_ldexp_f64 v[19:20], v[19:20], 2
	v_add_f64 v[31:32], v[13:14], v[28:29]
	v_cndmask_b32_e32 v20, 0, v20, vcc_lo
	v_cndmask_b32_e32 v19, 0, v19, vcc_lo
	v_add_f64 v[35:36], v[31:32], v[19:20]
	v_add_f64 v[13:14], v[31:32], -v[13:14]
	v_cmp_gt_f64_e32 vcc_lo, 0, v[35:36]
	v_add_f64 v[35:36], v[33:34], -v[37:38]
	v_add_f64 v[13:14], v[28:29], -v[13:14]
	v_cndmask_b32_e64 v42, 0, 0x40100000, vcc_lo
	v_add_f64 v[46:47], v[33:34], -v[35:36]
	v_add_f64 v[35:36], v[39:40], -v[35:36]
	v_add_f64 v[19:20], v[19:20], v[41:42]
	v_add_f64 v[42:43], v[28:29], -v[33:34]
	v_add_f64 v[39:40], v[37:38], -v[46:47]
	v_add_f64 v[44:45], v[31:32], v[19:20]
	;; [unrolled: 3-line block ×3, first 2 shown]
	v_cvt_i32_f64_e32 v44, v[44:45]
	v_add_f64 v[33:34], v[33:34], -v[48:49]
	v_cvt_f64_i32_e32 v[42:43], v44
	v_add_f64 v[15:16], v[15:16], v[33:34]
	v_add_f64 v[19:20], v[19:20], -v[42:43]
	v_add_f64 v[15:16], v[35:36], v[15:16]
	v_add_f64 v[33:34], v[31:32], v[19:20]
	;; [unrolled: 1-line block ×3, first 2 shown]
	v_add_f64 v[15:16], v[33:34], -v[19:20]
	v_cmp_le_f64_e32 vcc_lo, 0.5, v[33:34]
	v_add_f64 v[11:12], v[13:14], v[11:12]
	v_add_f64 v[13:14], v[31:32], -v[15:16]
	v_cndmask_b32_e64 v42, 0, 0x3ff00000, vcc_lo
	v_add_co_ci_u32_e64 v28, null, 0, v44, vcc_lo
	v_add_f64 v[11:12], v[11:12], v[13:14]
	v_add_f64 v[13:14], v[33:34], -v[41:42]
	v_add_f64 v[15:16], v[13:14], v[11:12]
	v_mul_f64 v[19:20], v[15:16], s[14:15]
	v_add_f64 v[13:14], v[15:16], -v[13:14]
	v_fma_f64 v[31:32], v[15:16], s[14:15], -v[19:20]
	v_add_f64 v[11:12], v[11:12], -v[13:14]
	v_fma_f64 v[13:14], v[15:16], s[16:17], v[31:32]
	v_fma_f64 v[13:14], v[11:12], s[14:15], v[13:14]
	v_add_f64 v[11:12], v[19:20], v[13:14]
	v_add_f64 v[15:16], v[11:12], -v[19:20]
	v_add_f64 v[13:14], v[13:14], -v[15:16]
	s_andn2_saveexec_b32 s5, s5
	s_cbranch_execz .LBB5_62
	s_branch .LBB5_61
.LBB5_60:
	s_andn2_saveexec_b32 s5, s5
	s_cbranch_execz .LBB5_62
.LBB5_61:
	s_mov_b32 s14, 0x6dc9c883
	s_mov_b32 s15, 0x3fe45f30
	;; [unrolled: 1-line block ×3, first 2 shown]
	v_mul_f64 v[11:12], |v[1:2]|, s[14:15]
	s_mov_b32 s14, 0x54442d18
	s_mov_b32 s15, 0xbff921fb
	;; [unrolled: 1-line block ×3, first 2 shown]
	v_rndne_f64_e32 v[15:16], v[11:12]
	v_fma_f64 v[11:12], v[15:16], s[14:15], |v[1:2]|
	v_mul_f64 v[13:14], v[15:16], s[16:17]
	s_mov_b32 s14, 0x252049c0
	s_mov_b32 s15, 0xb97b839a
	v_fma_f64 v[28:29], v[15:16], s[16:17], v[11:12]
	v_add_f64 v[19:20], v[11:12], v[13:14]
	s_mov_b32 s17, 0x3c91a626
	v_add_f64 v[11:12], v[11:12], -v[19:20]
	v_add_f64 v[19:20], v[19:20], -v[28:29]
	v_add_f64 v[11:12], v[11:12], v[13:14]
	v_fma_f64 v[13:14], v[15:16], s[16:17], v[13:14]
	v_add_f64 v[11:12], v[19:20], v[11:12]
	v_add_f64 v[11:12], v[11:12], -v[13:14]
	v_fma_f64 v[13:14], v[15:16], s[14:15], v[11:12]
	v_add_f64 v[11:12], v[28:29], v[13:14]
	v_add_f64 v[19:20], v[11:12], -v[28:29]
	v_cvt_i32_f64_e32 v28, v[15:16]
	v_add_f64 v[13:14], v[13:14], -v[19:20]
.LBB5_62:
	s_or_b32 exec_lo, exec_lo, s5
                                        ; implicit-def: $vgpr29
                                        ; implicit-def: $vgpr15_vgpr16
                                        ; implicit-def: $vgpr19_vgpr20
	s_and_saveexec_b32 s5, s4
	s_xor_b32 s4, exec_lo, s5
	s_cbranch_execz .LBB5_64
; %bb.63:
	v_cmp_le_f64_e64 vcc_lo, 0x7b000000, |v[1:2]|
	v_mov_b32_e32 v39, 0
	s_mov_b32 s14, 0x54442d18
	s_mov_b32 s15, 0x3ff921fb
	;; [unrolled: 1-line block ×4, first 2 shown]
	v_cndmask_b32_e32 v16, v30, v26, vcc_lo
	v_cndmask_b32_e32 v15, v1, v25, vcc_lo
	v_mul_f64 v[19:20], v[23:24], v[15:16]
	v_mul_f64 v[25:26], v[21:22], v[15:16]
	;; [unrolled: 1-line block ×3, first 2 shown]
	v_fma_f64 v[23:24], v[23:24], v[15:16], -v[19:20]
	v_fma_f64 v[21:22], v[21:22], v[15:16], -v[25:26]
	v_fma_f64 v[15:16], v[17:18], v[15:16], -v[37:38]
	v_add_f64 v[29:30], v[25:26], v[23:24]
	v_add_f64 v[31:32], v[29:30], -v[25:26]
	v_add_f64 v[35:36], v[19:20], v[29:30]
	v_add_f64 v[33:34], v[29:30], -v[31:32]
	v_add_f64 v[23:24], v[23:24], -v[31:32]
	v_ldexp_f64 v[31:32], v[35:36], -2
	v_add_f64 v[19:20], v[35:36], -v[19:20]
	v_add_f64 v[25:26], v[25:26], -v[33:34]
	v_add_f64 v[33:34], v[37:38], v[21:22]
	v_cmp_neq_f64_e64 vcc_lo, 0x7ff00000, |v[31:32]|
	v_add_f64 v[19:20], v[29:30], -v[19:20]
	v_add_f64 v[23:24], v[23:24], v[25:26]
	v_fract_f64_e32 v[25:26], v[31:32]
	v_add_f64 v[29:30], v[33:34], v[23:24]
	v_ldexp_f64 v[25:26], v[25:26], 2
	v_add_f64 v[31:32], v[19:20], v[29:30]
	v_cndmask_b32_e32 v26, 0, v26, vcc_lo
	v_cndmask_b32_e32 v25, 0, v25, vcc_lo
	v_add_f64 v[35:36], v[31:32], v[25:26]
	v_add_f64 v[17:18], v[31:32], -v[19:20]
	v_cmp_gt_f64_e32 vcc_lo, 0, v[35:36]
	v_add_f64 v[35:36], v[33:34], -v[37:38]
	v_add_f64 v[17:18], v[29:30], -v[17:18]
	v_cndmask_b32_e64 v40, 0, 0x40100000, vcc_lo
	v_add_f64 v[44:45], v[33:34], -v[35:36]
	v_add_f64 v[21:22], v[21:22], -v[35:36]
	v_add_f64 v[25:26], v[25:26], v[39:40]
	v_add_f64 v[40:41], v[29:30], -v[33:34]
	v_add_f64 v[35:36], v[37:38], -v[44:45]
	v_add_f64 v[42:43], v[31:32], v[25:26]
	;; [unrolled: 3-line block ×3, first 2 shown]
	v_cvt_i32_f64_e32 v42, v[42:43]
	v_add_f64 v[33:34], v[33:34], -v[46:47]
	v_cvt_f64_i32_e32 v[40:41], v42
	v_add_f64 v[23:24], v[23:24], v[33:34]
	v_add_f64 v[25:26], v[25:26], -v[40:41]
	v_add_f64 v[19:20], v[21:22], v[23:24]
	v_add_f64 v[21:22], v[31:32], v[25:26]
	;; [unrolled: 1-line block ×3, first 2 shown]
	v_add_f64 v[19:20], v[21:22], -v[25:26]
	v_cmp_le_f64_e32 vcc_lo, 0.5, v[21:22]
	v_add_f64 v[15:16], v[17:18], v[15:16]
	v_add_f64 v[17:18], v[31:32], -v[19:20]
	v_cndmask_b32_e64 v40, 0, 0x3ff00000, vcc_lo
	v_add_co_ci_u32_e64 v29, null, 0, v42, vcc_lo
	v_add_f64 v[15:16], v[15:16], v[17:18]
	v_add_f64 v[17:18], v[21:22], -v[39:40]
	v_add_f64 v[19:20], v[17:18], v[15:16]
	v_mul_f64 v[21:22], v[19:20], s[14:15]
	v_add_f64 v[17:18], v[19:20], -v[17:18]
	v_fma_f64 v[23:24], v[19:20], s[14:15], -v[21:22]
	v_add_f64 v[15:16], v[15:16], -v[17:18]
	v_fma_f64 v[17:18], v[19:20], s[16:17], v[23:24]
	v_fma_f64 v[17:18], v[15:16], s[14:15], v[17:18]
	v_add_f64 v[15:16], v[21:22], v[17:18]
	v_add_f64 v[19:20], v[15:16], -v[21:22]
	v_add_f64 v[19:20], v[17:18], -v[19:20]
	s_andn2_saveexec_b32 s4, s4
	s_cbranch_execnz .LBB5_65
	s_branch .LBB5_66
.LBB5_64:
	s_andn2_saveexec_b32 s4, s4
	s_cbranch_execz .LBB5_66
.LBB5_65:
	s_mov_b32 s14, 0x6dc9c883
	s_mov_b32 s15, 0x3fe45f30
	;; [unrolled: 1-line block ×3, first 2 shown]
	v_mul_f64 v[15:16], |v[1:2]|, s[14:15]
	s_mov_b32 s14, 0x54442d18
	s_mov_b32 s15, 0xbff921fb
	;; [unrolled: 1-line block ×3, first 2 shown]
	v_rndne_f64_e32 v[17:18], v[15:16]
	v_fma_f64 v[15:16], v[17:18], s[14:15], |v[1:2]|
	v_mul_f64 v[19:20], v[17:18], s[16:17]
	s_mov_b32 s14, 0x252049c0
	s_mov_b32 s15, 0xb97b839a
	v_cvt_i32_f64_e32 v29, v[17:18]
	v_fma_f64 v[23:24], v[17:18], s[16:17], v[15:16]
	v_add_f64 v[21:22], v[15:16], v[19:20]
	s_mov_b32 s17, 0x3c91a626
	v_add_f64 v[15:16], v[15:16], -v[21:22]
	v_add_f64 v[21:22], v[21:22], -v[23:24]
	v_add_f64 v[15:16], v[15:16], v[19:20]
	v_fma_f64 v[19:20], v[17:18], s[16:17], v[19:20]
	v_add_f64 v[15:16], v[21:22], v[15:16]
	v_add_f64 v[15:16], v[15:16], -v[19:20]
	v_fma_f64 v[19:20], v[17:18], s[14:15], v[15:16]
	v_add_f64 v[15:16], v[23:24], v[19:20]
	v_add_f64 v[21:22], v[15:16], -v[23:24]
	v_add_f64 v[19:20], v[19:20], -v[21:22]
.LBB5_66:
	s_or_b32 exec_lo, exec_lo, s4
	v_div_scale_f64 v[17:18], null, v[3:4], v[3:4], 0x40140000
	v_div_scale_f64 v[25:26], vcc_lo, 0x40140000, v[3:4], 0x40140000
	s_mov_b32 s4, 0x6b70ba40
	s_mov_b32 s5, 0x3faa27fa
	;; [unrolled: 1-line block ×8, first 2 shown]
	v_mul_f64 v[36:37], v[15:16], v[15:16]
	v_mul_f64 v[48:49], v[11:12], v[11:12]
	s_mov_b32 s22, 0x9037ab78
	s_mov_b32 s24, 0x46cc5e42
	;; [unrolled: 1-line block ×6, first 2 shown]
	v_mul_f64 v[58:59], v[19:20], 0.5
	v_mul_f64 v[74:75], v[13:14], 0.5
	v_rcp_f64_e32 v[21:22], v[17:18]
	v_fma_f64 v[50:51], v[36:37], s[24:25], s[22:23]
	v_mul_f64 v[52:53], v[36:37], 0.5
	v_fma_f64 v[60:61], v[48:49], s[24:25], s[22:23]
	v_mul_f64 v[62:63], v[48:49], 0.5
	v_mul_f64 v[64:65], v[15:16], -v[36:37]
	v_mul_f64 v[76:77], v[11:12], -v[48:49]
	v_mul_f64 v[80:81], v[36:37], v[36:37]
	v_fma_f64 v[23:24], -v[17:18], v[21:22], 1.0
	v_fma_f64 v[21:22], v[21:22], v[23:24], v[21:22]
	v_fma_f64 v[23:24], -v[17:18], v[21:22], 1.0
	v_fma_f64 v[21:22], v[21:22], v[23:24], v[21:22]
	v_mul_f64 v[23:24], v[25:26], v[21:22]
	v_fma_f64 v[17:18], -v[17:18], v[23:24], v[25:26]
	v_div_fmas_f64 v[17:18], v[17:18], v[21:22], v[23:24]
	v_div_fixup_f64 v[17:18], v[17:18], v[3:4], 0x40140000
	v_mul_f64 v[21:22], v[17:18], v[17:18]
	v_fma_f64 v[23:24], v[21:22], 0, s[4:5]
	s_mov_b32 s4, 0x4c6c651b
	s_mov_b32 s5, 0x3f48f92c
	v_fma_f64 v[25:26], v[21:22], 0, s[14:15]
	v_fma_f64 v[30:31], v[21:22], 0, s[4:5]
	v_fma_f64 v[32:33], v[21:22], 0, s[18:19]
	s_mov_b32 s4, 0xa3fec4b6
	s_mov_b32 s14, 0x5948aa83
	s_mov_b32 s5, 0x3fb2b948
	s_mov_b32 s15, 0x3fb19fdd
	s_mov_b32 s18, 0xa20e5f6f
	s_mov_b32 s19, 0x409081cb
	v_fma_f64 v[23:24], v[21:22], v[23:24], s[16:17]
	s_mov_b32 s16, 0x9acf1c67
	s_mov_b32 s17, 0x4052f4b9
	v_fma_f64 v[25:26], v[21:22], v[25:26], s[14:15]
	v_fma_f64 v[30:31], v[21:22], v[30:31], s[4:5]
	v_fma_f64 v[32:33], v[21:22], v[32:33], s[18:19]
	s_mov_b32 s4, 0xc21596d6
	s_mov_b32 s14, 0xb850eed6
	s_mov_b32 s5, 0x3ff208fe
	s_mov_b32 s15, 0x3ff1aea9
	s_mov_b32 s18, 0x1bfdfe81
	s_mov_b32 s19, 0x40b37a69
	;; [unrolled: 12-line block ×6, first 2 shown]
	v_fma_f64 v[23:24], v[21:22], v[23:24], s[16:17]
	s_mov_b32 s16, 0xb42fdfa7
	s_mov_b32 s17, 0xbe5ae600
	v_fma_f64 v[25:26], v[21:22], v[25:26], 1.0
	v_fma_f64 v[30:31], v[21:22], v[30:31], 1.0
	v_fma_f64 v[32:33], v[21:22], v[32:33], s[14:15]
	v_fma_f64 v[42:43], v[36:37], s[18:19], s[16:17]
	s_mov_b32 s14, 0x796cde01
	s_mov_b32 s15, 0x3ec71de3
	v_fma_f64 v[21:22], v[21:22], v[23:24], s[4:5]
	v_cmp_gt_f64_e64 s4, 0x10000000, v[3:4]
	v_div_scale_f64 v[23:24], null, v[25:26], v[25:26], v[30:31]
	v_fma_f64 v[42:43], v[36:37], v[42:43], s[14:15]
	v_div_scale_f64 v[70:71], vcc_lo, v[30:31], v[25:26], v[30:31]
	v_div_scale_f64 v[34:35], null, v[32:33], v[32:33], v[21:22]
	v_rcp_f64_e32 v[38:39], v[23:24]
	v_fma_f64 v[42:43], v[36:37], v[42:43], s[26:27]
	v_rcp_f64_e32 v[40:41], v[34:35]
	v_fma_f64 v[44:45], -v[23:24], v[38:39], 1.0
	v_fma_f64 v[46:47], -v[34:35], v[40:41], 1.0
	v_fma_f64 v[38:39], v[38:39], v[44:45], v[38:39]
	v_fma_f64 v[44:45], v[48:49], s[18:19], s[16:17]
	s_mov_b32 s16, 0xa17f65f6
	s_mov_b32 s17, 0xbe927e4f
	s_mov_b32 s18, 0x11110bb3
	s_mov_b32 s19, 0x3f811111
	v_fma_f64 v[42:43], v[36:37], v[42:43], s[18:19]
	v_fma_f64 v[40:41], v[40:41], v[46:47], v[40:41]
	v_cndmask_b32_e64 v46, 0, 0x100, s4
	v_fma_f64 v[54:55], -v[23:24], v[38:39], 1.0
	v_fma_f64 v[44:45], v[48:49], v[44:45], s[14:15]
	v_ldexp_f64 v[3:4], v[3:4], v46
	v_fma_f64 v[46:47], v[36:37], v[50:51], s[16:17]
	v_add_f64 v[50:51], -v[52:53], 1.0
	s_mov_b32 s14, 0x19f4ec90
	s_mov_b32 s15, 0x3efa01a0
	v_fma_f64 v[42:43], v[64:65], v[42:43], v[58:59]
	v_fma_f64 v[56:57], -v[34:35], v[40:41], 1.0
	v_fma_f64 v[38:39], v[38:39], v[54:55], v[38:39]
	v_div_scale_f64 v[54:55], s5, v[21:22], v[32:33], v[21:22]
	v_fma_f64 v[46:47], v[36:37], v[46:47], s[14:15]
	v_add_f64 v[68:69], -v[50:51], 1.0
	v_rsq_f64_e32 v[66:67], v[3:4]
	v_fma_f64 v[44:45], v[48:49], v[44:45], s[26:27]
	v_fma_f64 v[42:43], v[36:37], v[42:43], -v[19:20]
	v_fma_f64 v[40:41], v[40:41], v[56:57], v[40:41]
	v_fma_f64 v[56:57], v[48:49], v[60:61], s[16:17]
	v_add_f64 v[60:61], -v[62:63], 1.0
	s_mov_b32 s16, 0x16c16967
	s_mov_b32 s17, 0xbf56c16c
	v_fma_f64 v[46:47], v[36:37], v[46:47], s[16:17]
	v_add_f64 v[52:53], v[68:69], -v[52:53]
	v_mul_f64 v[68:69], v[70:71], v[38:39]
	v_fma_f64 v[44:45], v[48:49], v[44:45], s[18:19]
	v_mul_f64 v[58:59], v[3:4], v[66:67]
	v_mul_f64 v[66:67], v[66:67], 0.5
	s_mov_b32 s19, 0xbfc55555
	v_mul_f64 v[72:73], v[54:55], v[40:41]
	v_fma_f64 v[56:57], v[48:49], v[56:57], s[14:15]
	v_add_f64 v[78:79], -v[60:61], 1.0
	s_mov_b32 s14, 0x55555555
	s_mov_b32 s15, 0x3fa55555
	;; [unrolled: 1-line block ×3, first 2 shown]
	v_fma_f64 v[36:37], v[36:37], v[46:47], s[14:15]
	v_fma_f64 v[19:20], v[15:16], -v[19:20], v[52:53]
	v_fma_f64 v[23:24], -v[23:24], v[68:69], v[70:71]
	v_fma_f64 v[44:45], v[76:77], v[44:45], v[74:75]
	v_fma_f64 v[42:43], v[64:65], s[18:19], v[42:43]
	v_fma_f64 v[82:83], -v[66:67], v[58:59], 0.5
	v_fma_f64 v[34:35], -v[34:35], v[72:73], v[54:55]
	v_fma_f64 v[46:47], v[48:49], v[56:57], s[16:17]
	v_add_f64 v[52:53], v[78:79], -v[62:63]
	v_fma_f64 v[19:20], v[80:81], v[36:37], v[19:20]
	v_div_fmas_f64 v[23:24], v[23:24], v[38:39], v[68:69]
	s_mov_b32 vcc_lo, s5
	v_mul_f64 v[36:37], v[48:49], v[48:49]
	v_fma_f64 v[54:55], v[58:59], v[82:83], v[58:59]
	v_add_f64 v[15:16], v[15:16], -v[42:43]
	v_fma_f64 v[42:43], v[66:67], v[82:83], v[66:67]
	v_div_fmas_f64 v[34:35], v[34:35], v[40:41], v[72:73]
	v_fma_f64 v[38:39], v[48:49], v[46:47], s[14:15]
	v_fma_f64 v[40:41], v[11:12], -v[13:14], v[52:53]
	v_fma_f64 v[13:14], v[48:49], v[44:45], -v[13:14]
	v_add_f64 v[19:20], v[50:51], v[19:20]
	v_fma_f64 v[44:45], -v[54:55], v[54:55], v[3:4]
	v_xor_b32_e32 v16, 0x80000000, v16
	v_div_fixup_f64 v[21:22], v[34:35], v[32:33], v[21:22]
	v_and_b32_e32 v34, 1, v29
	v_fma_f64 v[32:33], v[36:37], v[38:39], v[40:41]
	v_fma_f64 v[13:14], v[76:77], s[18:19], v[13:14]
	v_cmp_eq_u32_e32 vcc_lo, 0, v34
	v_cndmask_b32_e32 v20, v16, v20, vcc_lo
	v_cndmask_b32_e32 v19, v15, v19, vcc_lo
	v_cmp_class_f64_e64 vcc_lo, v[1:2], 0x1f8
	v_fma_f64 v[34:35], v[44:45], v[42:43], v[54:55]
	v_lshlrev_b32_e32 v1, 30, v29
	v_and_b32_e32 v1, 0x80000000, v1
	v_mul_f64 v[15:16], v[17:18], v[21:22]
	v_lshlrev_b32_e32 v21, 30, v28
	v_add_f64 v[17:18], v[60:61], v[32:33]
	v_add_f64 v[11:12], v[11:12], -v[13:14]
	v_xor_b32_e32 v1, v20, v1
	v_xor_b32_e32 v21, v21, v2
	v_cndmask_b32_e32 v19, 0, v19, vcc_lo
	v_cndmask_b32_e32 v20, 0x7ff80000, v1, vcc_lo
	v_fma_f64 v[13:14], -v[34:35], v[34:35], v[3:4]
	v_div_fixup_f64 v[1:2], v[23:24], v[25:26], v[30:31]
	v_mul_f64 v[15:16], v[15:16], v[19:20]
	v_and_b32_e32 v19, 1, v28
	v_and_b32_e32 v20, 0x80000000, v21
	v_cmp_eq_u32_e64 s5, 0, v19
	v_cndmask_b32_e64 v12, v18, v12, s5
	v_cndmask_b32_e64 v17, v17, v11, s5
	v_xor_b32_e32 v18, v12, v20
	v_fma_f64 v[11:12], v[13:14], v[42:43], v[34:35]
	v_cndmask_b32_e32 v13, 0, v17, vcc_lo
	v_cndmask_b32_e32 v14, 0x7ff80000, v18, vcc_lo
	v_cmp_class_f64_e64 vcc_lo, v[3:4], 0x260
	v_fma_f64 v[1:2], v[1:2], v[13:14], v[15:16]
	v_cndmask_b32_e64 v13, 0, 0xffffff80, s4
	s_mov_b32 s4, 0x33d43651
	s_mov_b32 s5, 0x3fe98845
	v_ldexp_f64 v[11:12], v[11:12], v13
	v_mul_f64 v[1:2], v[1:2], s[4:5]
	v_cndmask_b32_e32 v4, v12, v4, vcc_lo
	v_cndmask_b32_e32 v3, v11, v3, vcc_lo
	v_div_scale_f64 v[11:12], null, v[3:4], v[3:4], v[1:2]
	v_rcp_f64_e32 v[13:14], v[11:12]
	v_fma_f64 v[15:16], -v[11:12], v[13:14], 1.0
	v_fma_f64 v[13:14], v[13:14], v[15:16], v[13:14]
	v_fma_f64 v[15:16], -v[11:12], v[13:14], 1.0
	v_fma_f64 v[13:14], v[13:14], v[15:16], v[13:14]
	v_div_scale_f64 v[15:16], vcc_lo, v[1:2], v[3:4], v[1:2]
	v_mul_f64 v[17:18], v[15:16], v[13:14]
	v_fma_f64 v[11:12], -v[11:12], v[17:18], v[15:16]
	v_div_fmas_f64 v[11:12], v[11:12], v[13:14], v[17:18]
	v_div_fixup_f64 v[11:12], v[11:12], v[3:4], v[1:2]
.LBB5_67:
	s_or_b32 exec_lo, exec_lo, s7
	s_add_u32 s4, s8, s12
	s_addc_u32 s5, s9, s13
	v_add_co_u32 v1, s7, s4, v27
	v_add_co_ci_u32_e64 v2, null, s5, 0, s7
	global_store_dwordx4 v27, v[5:8], s[4:5]
	v_add_co_u32 v1, vcc_lo, 0x1000, v1
	v_add_co_ci_u32_e64 v2, null, 0, v2, vcc_lo
	global_store_dwordx4 v[1:2], v[9:12], off
.LBB5_68:
	s_endpgm
	.section	.rodata,"a",@progbits
	.p2align	6, 0x0
	.amdhsa_kernel _ZN2at6native29vectorized_elementwise_kernelILi2EZZZNS0_12_GLOBAL__N_121bessel_y1_kernel_cudaERNS_18TensorIteratorBaseEENKUlvE_clEvENKUlvE_clEvEUldE_St5arrayIPcLm2EEEEviT0_T1_
		.amdhsa_group_segment_fixed_size 0
		.amdhsa_private_segment_fixed_size 0
		.amdhsa_kernarg_size 24
		.amdhsa_user_sgpr_count 6
		.amdhsa_user_sgpr_private_segment_buffer 1
		.amdhsa_user_sgpr_dispatch_ptr 0
		.amdhsa_user_sgpr_queue_ptr 0
		.amdhsa_user_sgpr_kernarg_segment_ptr 1
		.amdhsa_user_sgpr_dispatch_id 0
		.amdhsa_user_sgpr_flat_scratch_init 0
		.amdhsa_user_sgpr_private_segment_size 0
		.amdhsa_wavefront_size32 1
		.amdhsa_uses_dynamic_stack 0
		.amdhsa_system_sgpr_private_segment_wavefront_offset 0
		.amdhsa_system_sgpr_workgroup_id_x 1
		.amdhsa_system_sgpr_workgroup_id_y 0
		.amdhsa_system_sgpr_workgroup_id_z 0
		.amdhsa_system_sgpr_workgroup_info 0
		.amdhsa_system_vgpr_workitem_id 0
		.amdhsa_next_free_vgpr 84
		.amdhsa_next_free_sgpr 43
		.amdhsa_reserve_vcc 1
		.amdhsa_reserve_flat_scratch 0
		.amdhsa_float_round_mode_32 0
		.amdhsa_float_round_mode_16_64 0
		.amdhsa_float_denorm_mode_32 3
		.amdhsa_float_denorm_mode_16_64 3
		.amdhsa_dx10_clamp 1
		.amdhsa_ieee_mode 1
		.amdhsa_fp16_overflow 0
		.amdhsa_workgroup_processor_mode 1
		.amdhsa_memory_ordered 1
		.amdhsa_forward_progress 1
		.amdhsa_shared_vgpr_count 0
		.amdhsa_exception_fp_ieee_invalid_op 0
		.amdhsa_exception_fp_denorm_src 0
		.amdhsa_exception_fp_ieee_div_zero 0
		.amdhsa_exception_fp_ieee_overflow 0
		.amdhsa_exception_fp_ieee_underflow 0
		.amdhsa_exception_fp_ieee_inexact 0
		.amdhsa_exception_int_div_zero 0
	.end_amdhsa_kernel
	.section	.text._ZN2at6native29vectorized_elementwise_kernelILi2EZZZNS0_12_GLOBAL__N_121bessel_y1_kernel_cudaERNS_18TensorIteratorBaseEENKUlvE_clEvENKUlvE_clEvEUldE_St5arrayIPcLm2EEEEviT0_T1_,"axG",@progbits,_ZN2at6native29vectorized_elementwise_kernelILi2EZZZNS0_12_GLOBAL__N_121bessel_y1_kernel_cudaERNS_18TensorIteratorBaseEENKUlvE_clEvENKUlvE_clEvEUldE_St5arrayIPcLm2EEEEviT0_T1_,comdat
.Lfunc_end5:
	.size	_ZN2at6native29vectorized_elementwise_kernelILi2EZZZNS0_12_GLOBAL__N_121bessel_y1_kernel_cudaERNS_18TensorIteratorBaseEENKUlvE_clEvENKUlvE_clEvEUldE_St5arrayIPcLm2EEEEviT0_T1_, .Lfunc_end5-_ZN2at6native29vectorized_elementwise_kernelILi2EZZZNS0_12_GLOBAL__N_121bessel_y1_kernel_cudaERNS_18TensorIteratorBaseEENKUlvE_clEvENKUlvE_clEvEUldE_St5arrayIPcLm2EEEEviT0_T1_
                                        ; -- End function
	.set _ZN2at6native29vectorized_elementwise_kernelILi2EZZZNS0_12_GLOBAL__N_121bessel_y1_kernel_cudaERNS_18TensorIteratorBaseEENKUlvE_clEvENKUlvE_clEvEUldE_St5arrayIPcLm2EEEEviT0_T1_.num_vgpr, max(84, .L_ZN2at6native25elementwise_kernel_helperILb0EZZZNS0_12_GLOBAL__N_121bessel_y1_kernel_cudaERNS_18TensorIteratorBaseEENKUlvE_clEvENKUlvE_clEvEUldE_NS0_6memory8policies11unroll_baseILi256ESt5arrayIPcLm2EE23TrivialOffsetCalculatorILi1EjESF_NS8_15LoadWithoutCastENS8_16StoreWithoutCastELi4ELi1EEEEEvT0_T1_.num_vgpr)
	.set _ZN2at6native29vectorized_elementwise_kernelILi2EZZZNS0_12_GLOBAL__N_121bessel_y1_kernel_cudaERNS_18TensorIteratorBaseEENKUlvE_clEvENKUlvE_clEvEUldE_St5arrayIPcLm2EEEEviT0_T1_.num_agpr, max(0, .L_ZN2at6native25elementwise_kernel_helperILb0EZZZNS0_12_GLOBAL__N_121bessel_y1_kernel_cudaERNS_18TensorIteratorBaseEENKUlvE_clEvENKUlvE_clEvEUldE_NS0_6memory8policies11unroll_baseILi256ESt5arrayIPcLm2EE23TrivialOffsetCalculatorILi1EjESF_NS8_15LoadWithoutCastENS8_16StoreWithoutCastELi4ELi1EEEEEvT0_T1_.num_agpr)
	.set _ZN2at6native29vectorized_elementwise_kernelILi2EZZZNS0_12_GLOBAL__N_121bessel_y1_kernel_cudaERNS_18TensorIteratorBaseEENKUlvE_clEvENKUlvE_clEvEUldE_St5arrayIPcLm2EEEEviT0_T1_.numbered_sgpr, max(33, .L_ZN2at6native25elementwise_kernel_helperILb0EZZZNS0_12_GLOBAL__N_121bessel_y1_kernel_cudaERNS_18TensorIteratorBaseEENKUlvE_clEvENKUlvE_clEvEUldE_NS0_6memory8policies11unroll_baseILi256ESt5arrayIPcLm2EE23TrivialOffsetCalculatorILi1EjESF_NS8_15LoadWithoutCastENS8_16StoreWithoutCastELi4ELi1EEEEEvT0_T1_.numbered_sgpr)
	.set _ZN2at6native29vectorized_elementwise_kernelILi2EZZZNS0_12_GLOBAL__N_121bessel_y1_kernel_cudaERNS_18TensorIteratorBaseEENKUlvE_clEvENKUlvE_clEvEUldE_St5arrayIPcLm2EEEEviT0_T1_.num_named_barrier, max(0, .L_ZN2at6native25elementwise_kernel_helperILb0EZZZNS0_12_GLOBAL__N_121bessel_y1_kernel_cudaERNS_18TensorIteratorBaseEENKUlvE_clEvENKUlvE_clEvEUldE_NS0_6memory8policies11unroll_baseILi256ESt5arrayIPcLm2EE23TrivialOffsetCalculatorILi1EjESF_NS8_15LoadWithoutCastENS8_16StoreWithoutCastELi4ELi1EEEEEvT0_T1_.num_named_barrier)
	.set _ZN2at6native29vectorized_elementwise_kernelILi2EZZZNS0_12_GLOBAL__N_121bessel_y1_kernel_cudaERNS_18TensorIteratorBaseEENKUlvE_clEvENKUlvE_clEvEUldE_St5arrayIPcLm2EEEEviT0_T1_.private_seg_size, 0+max(.L_ZN2at6native25elementwise_kernel_helperILb0EZZZNS0_12_GLOBAL__N_121bessel_y1_kernel_cudaERNS_18TensorIteratorBaseEENKUlvE_clEvENKUlvE_clEvEUldE_NS0_6memory8policies11unroll_baseILi256ESt5arrayIPcLm2EE23TrivialOffsetCalculatorILi1EjESF_NS8_15LoadWithoutCastENS8_16StoreWithoutCastELi4ELi1EEEEEvT0_T1_.private_seg_size)
	.set _ZN2at6native29vectorized_elementwise_kernelILi2EZZZNS0_12_GLOBAL__N_121bessel_y1_kernel_cudaERNS_18TensorIteratorBaseEENKUlvE_clEvENKUlvE_clEvEUldE_St5arrayIPcLm2EEEEviT0_T1_.uses_vcc, or(1, .L_ZN2at6native25elementwise_kernel_helperILb0EZZZNS0_12_GLOBAL__N_121bessel_y1_kernel_cudaERNS_18TensorIteratorBaseEENKUlvE_clEvENKUlvE_clEvEUldE_NS0_6memory8policies11unroll_baseILi256ESt5arrayIPcLm2EE23TrivialOffsetCalculatorILi1EjESF_NS8_15LoadWithoutCastENS8_16StoreWithoutCastELi4ELi1EEEEEvT0_T1_.uses_vcc)
	.set _ZN2at6native29vectorized_elementwise_kernelILi2EZZZNS0_12_GLOBAL__N_121bessel_y1_kernel_cudaERNS_18TensorIteratorBaseEENKUlvE_clEvENKUlvE_clEvEUldE_St5arrayIPcLm2EEEEviT0_T1_.uses_flat_scratch, or(0, .L_ZN2at6native25elementwise_kernel_helperILb0EZZZNS0_12_GLOBAL__N_121bessel_y1_kernel_cudaERNS_18TensorIteratorBaseEENKUlvE_clEvENKUlvE_clEvEUldE_NS0_6memory8policies11unroll_baseILi256ESt5arrayIPcLm2EE23TrivialOffsetCalculatorILi1EjESF_NS8_15LoadWithoutCastENS8_16StoreWithoutCastELi4ELi1EEEEEvT0_T1_.uses_flat_scratch)
	.set _ZN2at6native29vectorized_elementwise_kernelILi2EZZZNS0_12_GLOBAL__N_121bessel_y1_kernel_cudaERNS_18TensorIteratorBaseEENKUlvE_clEvENKUlvE_clEvEUldE_St5arrayIPcLm2EEEEviT0_T1_.has_dyn_sized_stack, or(0, .L_ZN2at6native25elementwise_kernel_helperILb0EZZZNS0_12_GLOBAL__N_121bessel_y1_kernel_cudaERNS_18TensorIteratorBaseEENKUlvE_clEvENKUlvE_clEvEUldE_NS0_6memory8policies11unroll_baseILi256ESt5arrayIPcLm2EE23TrivialOffsetCalculatorILi1EjESF_NS8_15LoadWithoutCastENS8_16StoreWithoutCastELi4ELi1EEEEEvT0_T1_.has_dyn_sized_stack)
	.set _ZN2at6native29vectorized_elementwise_kernelILi2EZZZNS0_12_GLOBAL__N_121bessel_y1_kernel_cudaERNS_18TensorIteratorBaseEENKUlvE_clEvENKUlvE_clEvEUldE_St5arrayIPcLm2EEEEviT0_T1_.has_recursion, or(0, .L_ZN2at6native25elementwise_kernel_helperILb0EZZZNS0_12_GLOBAL__N_121bessel_y1_kernel_cudaERNS_18TensorIteratorBaseEENKUlvE_clEvENKUlvE_clEvEUldE_NS0_6memory8policies11unroll_baseILi256ESt5arrayIPcLm2EE23TrivialOffsetCalculatorILi1EjESF_NS8_15LoadWithoutCastENS8_16StoreWithoutCastELi4ELi1EEEEEvT0_T1_.has_recursion)
	.set _ZN2at6native29vectorized_elementwise_kernelILi2EZZZNS0_12_GLOBAL__N_121bessel_y1_kernel_cudaERNS_18TensorIteratorBaseEENKUlvE_clEvENKUlvE_clEvEUldE_St5arrayIPcLm2EEEEviT0_T1_.has_indirect_call, or(0, .L_ZN2at6native25elementwise_kernel_helperILb0EZZZNS0_12_GLOBAL__N_121bessel_y1_kernel_cudaERNS_18TensorIteratorBaseEENKUlvE_clEvENKUlvE_clEvEUldE_NS0_6memory8policies11unroll_baseILi256ESt5arrayIPcLm2EE23TrivialOffsetCalculatorILi1EjESF_NS8_15LoadWithoutCastENS8_16StoreWithoutCastELi4ELi1EEEEEvT0_T1_.has_indirect_call)
	.section	.AMDGPU.csdata,"",@progbits
; Kernel info:
; codeLenInByte = 21876
; TotalNumSgprs: 45
; NumVgprs: 84
; ScratchSize: 0
; MemoryBound: 0
; FloatMode: 240
; IeeeMode: 1
; LDSByteSize: 0 bytes/workgroup (compile time only)
; SGPRBlocks: 0
; VGPRBlocks: 10
; NumSGPRsForWavesPerEU: 45
; NumVGPRsForWavesPerEU: 84
; Occupancy: 10
; WaveLimiterHint : 1
; COMPUTE_PGM_RSRC2:SCRATCH_EN: 0
; COMPUTE_PGM_RSRC2:USER_SGPR: 6
; COMPUTE_PGM_RSRC2:TRAP_HANDLER: 0
; COMPUTE_PGM_RSRC2:TGID_X_EN: 1
; COMPUTE_PGM_RSRC2:TGID_Y_EN: 0
; COMPUTE_PGM_RSRC2:TGID_Z_EN: 0
; COMPUTE_PGM_RSRC2:TIDIG_COMP_CNT: 0
	.section	.text._ZN2at6native27unrolled_elementwise_kernelIZZZNS0_12_GLOBAL__N_121bessel_y1_kernel_cudaERNS_18TensorIteratorBaseEENKUlvE_clEvENKUlvE_clEvEUldE_St5arrayIPcLm2EELi4E23TrivialOffsetCalculatorILi1EjESC_NS0_6memory15LoadWithoutCastENSD_16StoreWithoutCastEEEviT_T0_T2_T3_T4_T5_,"axG",@progbits,_ZN2at6native27unrolled_elementwise_kernelIZZZNS0_12_GLOBAL__N_121bessel_y1_kernel_cudaERNS_18TensorIteratorBaseEENKUlvE_clEvENKUlvE_clEvEUldE_St5arrayIPcLm2EELi4E23TrivialOffsetCalculatorILi1EjESC_NS0_6memory15LoadWithoutCastENSD_16StoreWithoutCastEEEviT_T0_T2_T3_T4_T5_,comdat
	.globl	_ZN2at6native27unrolled_elementwise_kernelIZZZNS0_12_GLOBAL__N_121bessel_y1_kernel_cudaERNS_18TensorIteratorBaseEENKUlvE_clEvENKUlvE_clEvEUldE_St5arrayIPcLm2EELi4E23TrivialOffsetCalculatorILi1EjESC_NS0_6memory15LoadWithoutCastENSD_16StoreWithoutCastEEEviT_T0_T2_T3_T4_T5_ ; -- Begin function _ZN2at6native27unrolled_elementwise_kernelIZZZNS0_12_GLOBAL__N_121bessel_y1_kernel_cudaERNS_18TensorIteratorBaseEENKUlvE_clEvENKUlvE_clEvEUldE_St5arrayIPcLm2EELi4E23TrivialOffsetCalculatorILi1EjESC_NS0_6memory15LoadWithoutCastENSD_16StoreWithoutCastEEEviT_T0_T2_T3_T4_T5_
	.p2align	8
	.type	_ZN2at6native27unrolled_elementwise_kernelIZZZNS0_12_GLOBAL__N_121bessel_y1_kernel_cudaERNS_18TensorIteratorBaseEENKUlvE_clEvENKUlvE_clEvEUldE_St5arrayIPcLm2EELi4E23TrivialOffsetCalculatorILi1EjESC_NS0_6memory15LoadWithoutCastENSD_16StoreWithoutCastEEEviT_T0_T2_T3_T4_T5_,@function
_ZN2at6native27unrolled_elementwise_kernelIZZZNS0_12_GLOBAL__N_121bessel_y1_kernel_cudaERNS_18TensorIteratorBaseEENKUlvE_clEvENKUlvE_clEvEUldE_St5arrayIPcLm2EELi4E23TrivialOffsetCalculatorILi1EjESC_NS0_6memory15LoadWithoutCastENSD_16StoreWithoutCastEEEviT_T0_T2_T3_T4_T5_: ; @_ZN2at6native27unrolled_elementwise_kernelIZZZNS0_12_GLOBAL__N_121bessel_y1_kernel_cudaERNS_18TensorIteratorBaseEENKUlvE_clEvENKUlvE_clEvEUldE_St5arrayIPcLm2EELi4E23TrivialOffsetCalculatorILi1EjESC_NS0_6memory15LoadWithoutCastENSD_16StoreWithoutCastEEEviT_T0_T2_T3_T4_T5_
; %bb.0:
	s_add_u32 s0, s0, s7
	s_clause 0x1
	s_load_dword s7, s[4:5], 0x0
	s_load_dwordx4 s[8:11], s[4:5], 0x8
	s_addc_u32 s1, s1, 0
	s_lshl_b32 s12, s6, 10
	s_getpc_b64 s[4:5]
	s_add_u32 s4, s4, _ZN2at6native25elementwise_kernel_helperILb0EZZZNS0_12_GLOBAL__N_121bessel_y1_kernel_cudaERNS_18TensorIteratorBaseEENKUlvE_clEvENKUlvE_clEvEUldE_NS0_6memory8policies11unroll_baseILi256ESt5arrayIPcLm2EE23TrivialOffsetCalculatorILi1EjESF_NS8_15LoadWithoutCastENS8_16StoreWithoutCastELi4ELi1EEEEEvT0_T1_@rel32@lo+4
	s_addc_u32 s5, s5, _ZN2at6native25elementwise_kernel_helperILb0EZZZNS0_12_GLOBAL__N_121bessel_y1_kernel_cudaERNS_18TensorIteratorBaseEENKUlvE_clEvENKUlvE_clEvEUldE_NS0_6memory8policies11unroll_baseILi256ESt5arrayIPcLm2EE23TrivialOffsetCalculatorILi1EjESF_NS8_15LoadWithoutCastENS8_16StoreWithoutCastELi4ELi1EEEEEvT0_T1_@rel32@hi+12
	v_mov_b32_e32 v31, v0
	s_mov_b32 s32, 0
	s_waitcnt lgkmcnt(0)
	s_sub_i32 s7, s7, s12
	v_mov_b32_e32 v0, s8
	v_mov_b32_e32 v1, s9
	;; [unrolled: 1-line block ×5, first 2 shown]
	s_mov_b32 s12, s6
	s_swappc_b64 s[30:31], s[4:5]
	s_endpgm
	.section	.rodata,"a",@progbits
	.p2align	6, 0x0
	.amdhsa_kernel _ZN2at6native27unrolled_elementwise_kernelIZZZNS0_12_GLOBAL__N_121bessel_y1_kernel_cudaERNS_18TensorIteratorBaseEENKUlvE_clEvENKUlvE_clEvEUldE_St5arrayIPcLm2EELi4E23TrivialOffsetCalculatorILi1EjESC_NS0_6memory15LoadWithoutCastENSD_16StoreWithoutCastEEEviT_T0_T2_T3_T4_T5_
		.amdhsa_group_segment_fixed_size 0
		.amdhsa_private_segment_fixed_size 0
		.amdhsa_kernarg_size 28
		.amdhsa_user_sgpr_count 6
		.amdhsa_user_sgpr_private_segment_buffer 1
		.amdhsa_user_sgpr_dispatch_ptr 0
		.amdhsa_user_sgpr_queue_ptr 0
		.amdhsa_user_sgpr_kernarg_segment_ptr 1
		.amdhsa_user_sgpr_dispatch_id 0
		.amdhsa_user_sgpr_flat_scratch_init 0
		.amdhsa_user_sgpr_private_segment_size 0
		.amdhsa_wavefront_size32 1
		.amdhsa_uses_dynamic_stack 0
		.amdhsa_system_sgpr_private_segment_wavefront_offset 0
		.amdhsa_system_sgpr_workgroup_id_x 1
		.amdhsa_system_sgpr_workgroup_id_y 0
		.amdhsa_system_sgpr_workgroup_id_z 0
		.amdhsa_system_sgpr_workgroup_info 0
		.amdhsa_system_vgpr_workitem_id 0
		.amdhsa_next_free_vgpr 84
		.amdhsa_next_free_sgpr 43
		.amdhsa_reserve_vcc 1
		.amdhsa_reserve_flat_scratch 0
		.amdhsa_float_round_mode_32 0
		.amdhsa_float_round_mode_16_64 0
		.amdhsa_float_denorm_mode_32 3
		.amdhsa_float_denorm_mode_16_64 3
		.amdhsa_dx10_clamp 1
		.amdhsa_ieee_mode 1
		.amdhsa_fp16_overflow 0
		.amdhsa_workgroup_processor_mode 1
		.amdhsa_memory_ordered 1
		.amdhsa_forward_progress 1
		.amdhsa_shared_vgpr_count 0
		.amdhsa_exception_fp_ieee_invalid_op 0
		.amdhsa_exception_fp_denorm_src 0
		.amdhsa_exception_fp_ieee_div_zero 0
		.amdhsa_exception_fp_ieee_overflow 0
		.amdhsa_exception_fp_ieee_underflow 0
		.amdhsa_exception_fp_ieee_inexact 0
		.amdhsa_exception_int_div_zero 0
	.end_amdhsa_kernel
	.section	.text._ZN2at6native27unrolled_elementwise_kernelIZZZNS0_12_GLOBAL__N_121bessel_y1_kernel_cudaERNS_18TensorIteratorBaseEENKUlvE_clEvENKUlvE_clEvEUldE_St5arrayIPcLm2EELi4E23TrivialOffsetCalculatorILi1EjESC_NS0_6memory15LoadWithoutCastENSD_16StoreWithoutCastEEEviT_T0_T2_T3_T4_T5_,"axG",@progbits,_ZN2at6native27unrolled_elementwise_kernelIZZZNS0_12_GLOBAL__N_121bessel_y1_kernel_cudaERNS_18TensorIteratorBaseEENKUlvE_clEvENKUlvE_clEvEUldE_St5arrayIPcLm2EELi4E23TrivialOffsetCalculatorILi1EjESC_NS0_6memory15LoadWithoutCastENSD_16StoreWithoutCastEEEviT_T0_T2_T3_T4_T5_,comdat
.Lfunc_end6:
	.size	_ZN2at6native27unrolled_elementwise_kernelIZZZNS0_12_GLOBAL__N_121bessel_y1_kernel_cudaERNS_18TensorIteratorBaseEENKUlvE_clEvENKUlvE_clEvEUldE_St5arrayIPcLm2EELi4E23TrivialOffsetCalculatorILi1EjESC_NS0_6memory15LoadWithoutCastENSD_16StoreWithoutCastEEEviT_T0_T2_T3_T4_T5_, .Lfunc_end6-_ZN2at6native27unrolled_elementwise_kernelIZZZNS0_12_GLOBAL__N_121bessel_y1_kernel_cudaERNS_18TensorIteratorBaseEENKUlvE_clEvENKUlvE_clEvEUldE_St5arrayIPcLm2EELi4E23TrivialOffsetCalculatorILi1EjESC_NS0_6memory15LoadWithoutCastENSD_16StoreWithoutCastEEEviT_T0_T2_T3_T4_T5_
                                        ; -- End function
	.set _ZN2at6native27unrolled_elementwise_kernelIZZZNS0_12_GLOBAL__N_121bessel_y1_kernel_cudaERNS_18TensorIteratorBaseEENKUlvE_clEvENKUlvE_clEvEUldE_St5arrayIPcLm2EELi4E23TrivialOffsetCalculatorILi1EjESC_NS0_6memory15LoadWithoutCastENSD_16StoreWithoutCastEEEviT_T0_T2_T3_T4_T5_.num_vgpr, max(32, .L_ZN2at6native25elementwise_kernel_helperILb0EZZZNS0_12_GLOBAL__N_121bessel_y1_kernel_cudaERNS_18TensorIteratorBaseEENKUlvE_clEvENKUlvE_clEvEUldE_NS0_6memory8policies11unroll_baseILi256ESt5arrayIPcLm2EE23TrivialOffsetCalculatorILi1EjESF_NS8_15LoadWithoutCastENS8_16StoreWithoutCastELi4ELi1EEEEEvT0_T1_.num_vgpr)
	.set _ZN2at6native27unrolled_elementwise_kernelIZZZNS0_12_GLOBAL__N_121bessel_y1_kernel_cudaERNS_18TensorIteratorBaseEENKUlvE_clEvENKUlvE_clEvEUldE_St5arrayIPcLm2EELi4E23TrivialOffsetCalculatorILi1EjESC_NS0_6memory15LoadWithoutCastENSD_16StoreWithoutCastEEEviT_T0_T2_T3_T4_T5_.num_agpr, max(0, .L_ZN2at6native25elementwise_kernel_helperILb0EZZZNS0_12_GLOBAL__N_121bessel_y1_kernel_cudaERNS_18TensorIteratorBaseEENKUlvE_clEvENKUlvE_clEvEUldE_NS0_6memory8policies11unroll_baseILi256ESt5arrayIPcLm2EE23TrivialOffsetCalculatorILi1EjESF_NS8_15LoadWithoutCastENS8_16StoreWithoutCastELi4ELi1EEEEEvT0_T1_.num_agpr)
	.set _ZN2at6native27unrolled_elementwise_kernelIZZZNS0_12_GLOBAL__N_121bessel_y1_kernel_cudaERNS_18TensorIteratorBaseEENKUlvE_clEvENKUlvE_clEvEUldE_St5arrayIPcLm2EELi4E23TrivialOffsetCalculatorILi1EjESC_NS0_6memory15LoadWithoutCastENSD_16StoreWithoutCastEEEviT_T0_T2_T3_T4_T5_.numbered_sgpr, max(33, .L_ZN2at6native25elementwise_kernel_helperILb0EZZZNS0_12_GLOBAL__N_121bessel_y1_kernel_cudaERNS_18TensorIteratorBaseEENKUlvE_clEvENKUlvE_clEvEUldE_NS0_6memory8policies11unroll_baseILi256ESt5arrayIPcLm2EE23TrivialOffsetCalculatorILi1EjESF_NS8_15LoadWithoutCastENS8_16StoreWithoutCastELi4ELi1EEEEEvT0_T1_.numbered_sgpr)
	.set _ZN2at6native27unrolled_elementwise_kernelIZZZNS0_12_GLOBAL__N_121bessel_y1_kernel_cudaERNS_18TensorIteratorBaseEENKUlvE_clEvENKUlvE_clEvEUldE_St5arrayIPcLm2EELi4E23TrivialOffsetCalculatorILi1EjESC_NS0_6memory15LoadWithoutCastENSD_16StoreWithoutCastEEEviT_T0_T2_T3_T4_T5_.num_named_barrier, max(0, .L_ZN2at6native25elementwise_kernel_helperILb0EZZZNS0_12_GLOBAL__N_121bessel_y1_kernel_cudaERNS_18TensorIteratorBaseEENKUlvE_clEvENKUlvE_clEvEUldE_NS0_6memory8policies11unroll_baseILi256ESt5arrayIPcLm2EE23TrivialOffsetCalculatorILi1EjESF_NS8_15LoadWithoutCastENS8_16StoreWithoutCastELi4ELi1EEEEEvT0_T1_.num_named_barrier)
	.set _ZN2at6native27unrolled_elementwise_kernelIZZZNS0_12_GLOBAL__N_121bessel_y1_kernel_cudaERNS_18TensorIteratorBaseEENKUlvE_clEvENKUlvE_clEvEUldE_St5arrayIPcLm2EELi4E23TrivialOffsetCalculatorILi1EjESC_NS0_6memory15LoadWithoutCastENSD_16StoreWithoutCastEEEviT_T0_T2_T3_T4_T5_.private_seg_size, 0+max(.L_ZN2at6native25elementwise_kernel_helperILb0EZZZNS0_12_GLOBAL__N_121bessel_y1_kernel_cudaERNS_18TensorIteratorBaseEENKUlvE_clEvENKUlvE_clEvEUldE_NS0_6memory8policies11unroll_baseILi256ESt5arrayIPcLm2EE23TrivialOffsetCalculatorILi1EjESF_NS8_15LoadWithoutCastENS8_16StoreWithoutCastELi4ELi1EEEEEvT0_T1_.private_seg_size)
	.set _ZN2at6native27unrolled_elementwise_kernelIZZZNS0_12_GLOBAL__N_121bessel_y1_kernel_cudaERNS_18TensorIteratorBaseEENKUlvE_clEvENKUlvE_clEvEUldE_St5arrayIPcLm2EELi4E23TrivialOffsetCalculatorILi1EjESC_NS0_6memory15LoadWithoutCastENSD_16StoreWithoutCastEEEviT_T0_T2_T3_T4_T5_.uses_vcc, or(1, .L_ZN2at6native25elementwise_kernel_helperILb0EZZZNS0_12_GLOBAL__N_121bessel_y1_kernel_cudaERNS_18TensorIteratorBaseEENKUlvE_clEvENKUlvE_clEvEUldE_NS0_6memory8policies11unroll_baseILi256ESt5arrayIPcLm2EE23TrivialOffsetCalculatorILi1EjESF_NS8_15LoadWithoutCastENS8_16StoreWithoutCastELi4ELi1EEEEEvT0_T1_.uses_vcc)
	.set _ZN2at6native27unrolled_elementwise_kernelIZZZNS0_12_GLOBAL__N_121bessel_y1_kernel_cudaERNS_18TensorIteratorBaseEENKUlvE_clEvENKUlvE_clEvEUldE_St5arrayIPcLm2EELi4E23TrivialOffsetCalculatorILi1EjESC_NS0_6memory15LoadWithoutCastENSD_16StoreWithoutCastEEEviT_T0_T2_T3_T4_T5_.uses_flat_scratch, or(0, .L_ZN2at6native25elementwise_kernel_helperILb0EZZZNS0_12_GLOBAL__N_121bessel_y1_kernel_cudaERNS_18TensorIteratorBaseEENKUlvE_clEvENKUlvE_clEvEUldE_NS0_6memory8policies11unroll_baseILi256ESt5arrayIPcLm2EE23TrivialOffsetCalculatorILi1EjESF_NS8_15LoadWithoutCastENS8_16StoreWithoutCastELi4ELi1EEEEEvT0_T1_.uses_flat_scratch)
	.set _ZN2at6native27unrolled_elementwise_kernelIZZZNS0_12_GLOBAL__N_121bessel_y1_kernel_cudaERNS_18TensorIteratorBaseEENKUlvE_clEvENKUlvE_clEvEUldE_St5arrayIPcLm2EELi4E23TrivialOffsetCalculatorILi1EjESC_NS0_6memory15LoadWithoutCastENSD_16StoreWithoutCastEEEviT_T0_T2_T3_T4_T5_.has_dyn_sized_stack, or(0, .L_ZN2at6native25elementwise_kernel_helperILb0EZZZNS0_12_GLOBAL__N_121bessel_y1_kernel_cudaERNS_18TensorIteratorBaseEENKUlvE_clEvENKUlvE_clEvEUldE_NS0_6memory8policies11unroll_baseILi256ESt5arrayIPcLm2EE23TrivialOffsetCalculatorILi1EjESF_NS8_15LoadWithoutCastENS8_16StoreWithoutCastELi4ELi1EEEEEvT0_T1_.has_dyn_sized_stack)
	.set _ZN2at6native27unrolled_elementwise_kernelIZZZNS0_12_GLOBAL__N_121bessel_y1_kernel_cudaERNS_18TensorIteratorBaseEENKUlvE_clEvENKUlvE_clEvEUldE_St5arrayIPcLm2EELi4E23TrivialOffsetCalculatorILi1EjESC_NS0_6memory15LoadWithoutCastENSD_16StoreWithoutCastEEEviT_T0_T2_T3_T4_T5_.has_recursion, or(0, .L_ZN2at6native25elementwise_kernel_helperILb0EZZZNS0_12_GLOBAL__N_121bessel_y1_kernel_cudaERNS_18TensorIteratorBaseEENKUlvE_clEvENKUlvE_clEvEUldE_NS0_6memory8policies11unroll_baseILi256ESt5arrayIPcLm2EE23TrivialOffsetCalculatorILi1EjESF_NS8_15LoadWithoutCastENS8_16StoreWithoutCastELi4ELi1EEEEEvT0_T1_.has_recursion)
	.set _ZN2at6native27unrolled_elementwise_kernelIZZZNS0_12_GLOBAL__N_121bessel_y1_kernel_cudaERNS_18TensorIteratorBaseEENKUlvE_clEvENKUlvE_clEvEUldE_St5arrayIPcLm2EELi4E23TrivialOffsetCalculatorILi1EjESC_NS0_6memory15LoadWithoutCastENSD_16StoreWithoutCastEEEviT_T0_T2_T3_T4_T5_.has_indirect_call, or(0, .L_ZN2at6native25elementwise_kernel_helperILb0EZZZNS0_12_GLOBAL__N_121bessel_y1_kernel_cudaERNS_18TensorIteratorBaseEENKUlvE_clEvENKUlvE_clEvEUldE_NS0_6memory8policies11unroll_baseILi256ESt5arrayIPcLm2EE23TrivialOffsetCalculatorILi1EjESF_NS8_15LoadWithoutCastENS8_16StoreWithoutCastELi4ELi1EEEEEvT0_T1_.has_indirect_call)
	.section	.AMDGPU.csdata,"",@progbits
; Kernel info:
; codeLenInByte = 100
; TotalNumSgprs: 45
; NumVgprs: 84
; ScratchSize: 0
; MemoryBound: 0
; FloatMode: 240
; IeeeMode: 1
; LDSByteSize: 0 bytes/workgroup (compile time only)
; SGPRBlocks: 0
; VGPRBlocks: 10
; NumSGPRsForWavesPerEU: 45
; NumVGPRsForWavesPerEU: 84
; Occupancy: 10
; WaveLimiterHint : 0
; COMPUTE_PGM_RSRC2:SCRATCH_EN: 0
; COMPUTE_PGM_RSRC2:USER_SGPR: 6
; COMPUTE_PGM_RSRC2:TRAP_HANDLER: 0
; COMPUTE_PGM_RSRC2:TGID_X_EN: 1
; COMPUTE_PGM_RSRC2:TGID_Y_EN: 0
; COMPUTE_PGM_RSRC2:TGID_Z_EN: 0
; COMPUTE_PGM_RSRC2:TIDIG_COMP_CNT: 0
	.section	.text._ZN2at6native32elementwise_kernel_manual_unrollILi128ELi4EZNS0_22gpu_kernel_impl_nocastIZZZNS0_12_GLOBAL__N_121bessel_y1_kernel_cudaERNS_18TensorIteratorBaseEENKUlvE_clEvENKUlvE_clEvEUldE_EEvS5_RKT_EUlibE_EEviT1_,"axG",@progbits,_ZN2at6native32elementwise_kernel_manual_unrollILi128ELi4EZNS0_22gpu_kernel_impl_nocastIZZZNS0_12_GLOBAL__N_121bessel_y1_kernel_cudaERNS_18TensorIteratorBaseEENKUlvE_clEvENKUlvE_clEvEUldE_EEvS5_RKT_EUlibE_EEviT1_,comdat
	.globl	_ZN2at6native32elementwise_kernel_manual_unrollILi128ELi4EZNS0_22gpu_kernel_impl_nocastIZZZNS0_12_GLOBAL__N_121bessel_y1_kernel_cudaERNS_18TensorIteratorBaseEENKUlvE_clEvENKUlvE_clEvEUldE_EEvS5_RKT_EUlibE_EEviT1_ ; -- Begin function _ZN2at6native32elementwise_kernel_manual_unrollILi128ELi4EZNS0_22gpu_kernel_impl_nocastIZZZNS0_12_GLOBAL__N_121bessel_y1_kernel_cudaERNS_18TensorIteratorBaseEENKUlvE_clEvENKUlvE_clEvEUldE_EEvS5_RKT_EUlibE_EEviT1_
	.p2align	8
	.type	_ZN2at6native32elementwise_kernel_manual_unrollILi128ELi4EZNS0_22gpu_kernel_impl_nocastIZZZNS0_12_GLOBAL__N_121bessel_y1_kernel_cudaERNS_18TensorIteratorBaseEENKUlvE_clEvENKUlvE_clEvEUldE_EEvS5_RKT_EUlibE_EEviT1_,@function
_ZN2at6native32elementwise_kernel_manual_unrollILi128ELi4EZNS0_22gpu_kernel_impl_nocastIZZZNS0_12_GLOBAL__N_121bessel_y1_kernel_cudaERNS_18TensorIteratorBaseEENKUlvE_clEvENKUlvE_clEvEUldE_EEvS5_RKT_EUlibE_EEviT1_: ; @_ZN2at6native32elementwise_kernel_manual_unrollILi128ELi4EZNS0_22gpu_kernel_impl_nocastIZZZNS0_12_GLOBAL__N_121bessel_y1_kernel_cudaERNS_18TensorIteratorBaseEENKUlvE_clEvENKUlvE_clEvEUldE_EEvS5_RKT_EUlibE_EEviT1_
; %bb.0:
	s_clause 0x1
	s_load_dword s22, s[4:5], 0x8
	s_load_dword s27, s[4:5], 0x0
	v_lshl_or_b32 v13, s6, 9, v0
	s_add_u32 s16, s4, 8
	s_addc_u32 s17, s5, 0
	s_mov_b32 s0, exec_lo
	v_or_b32_e32 v12, 0x180, v13
	s_waitcnt lgkmcnt(0)
	s_add_i32 s23, s22, -1
	s_cmp_gt_u32 s23, 1
	s_cselect_b32 s24, -1, 0
	v_cmpx_le_i32_e64 s27, v12
	s_xor_b32 s25, exec_lo, s0
	s_cbranch_execz .LBB7_7
; %bb.1:
	s_clause 0x3
	s_load_dwordx4 s[12:15], s[16:17], 0x4
	s_load_dwordx2 s[18:19], s[16:17], 0x14
	s_load_dwordx4 s[8:11], s[16:17], 0xc4
	s_load_dwordx4 s[4:7], s[16:17], 0x148
	s_cmp_lg_u32 s22, 0
	s_mov_b32 s30, exec_lo
	s_cselect_b32 s29, -1, 0
	s_add_u32 s20, s16, 0xc4
	s_addc_u32 s21, s17, 0
	s_min_u32 s28, s23, 15
	s_cmp_gt_u32 s22, 1
	s_cselect_b32 s26, -1, 0
	v_cmpx_gt_i32_e64 s27, v13
	s_cbranch_execz .LBB7_14
; %bb.2:
	s_andn2_b32 vcc_lo, exec_lo, s24
	s_cbranch_vccnz .LBB7_21
; %bb.3:
	s_andn2_b32 vcc_lo, exec_lo, s29
	s_cbranch_vccnz .LBB7_137
; %bb.4:
	s_add_i32 s33, s28, 1
	s_cmp_eq_u32 s23, 2
	s_cbranch_scc1 .LBB7_139
; %bb.5:
	v_mov_b32_e32 v2, 0
	v_mov_b32_e32 v0, 0
	;; [unrolled: 1-line block ×3, first 2 shown]
	s_and_b32 s31, s33, 28
	s_mov_b32 s34, 0
	s_mov_b64 s[0:1], s[16:17]
	s_mov_b64 s[2:3], s[20:21]
.LBB7_6:                                ; =>This Inner Loop Header: Depth=1
	s_clause 0x1
	s_load_dwordx8 s[36:43], s[0:1], 0x4
	s_load_dwordx4 s[52:55], s[0:1], 0x24
	s_load_dwordx8 s[44:51], s[2:3], 0x0
	s_add_u32 s0, s0, 48
	s_addc_u32 s1, s1, 0
	s_add_i32 s34, s34, 4
	s_add_u32 s2, s2, 32
	s_addc_u32 s3, s3, 0
	s_cmp_lg_u32 s31, s34
	s_waitcnt lgkmcnt(0)
	v_mul_hi_u32 v3, s37, v1
	v_add_nc_u32_e32 v3, v1, v3
	v_lshrrev_b32_e32 v3, s38, v3
	v_mul_hi_u32 v4, s40, v3
	v_mul_lo_u32 v6, v3, s36
	v_add_nc_u32_e32 v4, v3, v4
	v_sub_nc_u32_e32 v1, v1, v6
	v_lshrrev_b32_e32 v4, s41, v4
	v_mul_lo_u32 v6, v1, s44
	v_mul_lo_u32 v8, v1, s45
	v_mul_hi_u32 v5, s43, v4
	v_add_nc_u32_e32 v5, v4, v5
	v_lshrrev_b32_e32 v5, s52, v5
	v_mul_hi_u32 v7, s54, v5
	v_mul_lo_u32 v9, v5, s42
	v_add_nc_u32_e32 v1, v5, v7
	v_mul_lo_u32 v7, v4, s39
	v_sub_nc_u32_e32 v4, v4, v9
	v_lshrrev_b32_e32 v1, s55, v1
	v_mul_lo_u32 v9, v4, s48
	v_mul_lo_u32 v4, v4, s49
	v_sub_nc_u32_e32 v3, v3, v7
	v_mul_lo_u32 v10, v1, s53
	v_mul_lo_u32 v7, v3, s46
	v_mul_lo_u32 v3, v3, s47
	v_sub_nc_u32_e32 v5, v5, v10
	v_add3_u32 v0, v6, v0, v7
	v_mul_lo_u32 v10, v5, s50
	v_mul_lo_u32 v5, v5, s51
	v_add3_u32 v2, v8, v2, v3
	v_add3_u32 v0, v9, v0, v10
	;; [unrolled: 1-line block ×3, first 2 shown]
	s_cbranch_scc1 .LBB7_6
	s_branch .LBB7_140
.LBB7_7:
	s_andn2_saveexec_b32 s0, s25
	s_cbranch_execz .LBB7_197
.LBB7_8:
	v_cndmask_b32_e64 v4, 0, 1, s24
	s_andn2_b32 vcc_lo, exec_lo, s24
	s_cbranch_vccnz .LBB7_20
; %bb.9:
	s_cmp_lg_u32 s22, 0
	s_waitcnt lgkmcnt(0)
	s_mov_b32 s4, 0
	s_cbranch_scc0 .LBB7_23
; %bb.10:
	s_min_u32 s6, s23, 15
	s_add_i32 s6, s6, 1
	s_cmp_eq_u32 s23, 2
	s_cbranch_scc1 .LBB7_24
; %bb.11:
	v_mov_b32_e32 v7, 0
	v_mov_b32_e32 v0, 0
	;; [unrolled: 1-line block ×3, first 2 shown]
	s_and_b32 s5, s6, 28
	s_add_u32 s0, s16, 0xc4
	s_addc_u32 s1, s17, 0
	s_mov_b32 s7, 0
	s_mov_b64 s[2:3], s[16:17]
.LBB7_12:                               ; =>This Inner Loop Header: Depth=1
	s_clause 0x1
	s_load_dwordx8 s[8:15], s[2:3], 0x4
	s_load_dwordx4 s[36:39], s[2:3], 0x24
	s_load_dwordx8 s[24:31], s[0:1], 0x0
	s_add_u32 s2, s2, 48
	s_addc_u32 s3, s3, 0
	s_add_i32 s7, s7, 4
	s_add_u32 s0, s0, 32
	s_addc_u32 s1, s1, 0
	s_cmp_lg_u32 s5, s7
	s_waitcnt lgkmcnt(0)
	v_mul_hi_u32 v2, s9, v1
	v_add_nc_u32_e32 v2, v1, v2
	v_lshrrev_b32_e32 v2, s10, v2
	v_mul_hi_u32 v3, s12, v2
	v_mul_lo_u32 v6, v2, s8
	v_add_nc_u32_e32 v3, v2, v3
	v_sub_nc_u32_e32 v1, v1, v6
	v_lshrrev_b32_e32 v3, s13, v3
	v_mul_lo_u32 v6, v1, s24
	v_mul_lo_u32 v9, v1, s25
	v_mul_hi_u32 v5, s15, v3
	v_add_nc_u32_e32 v5, v3, v5
	v_lshrrev_b32_e32 v5, s36, v5
	v_mul_hi_u32 v8, s38, v5
	v_mul_lo_u32 v10, v5, s14
	v_add_nc_u32_e32 v1, v5, v8
	v_mul_lo_u32 v8, v3, s11
	v_sub_nc_u32_e32 v3, v3, v10
	v_lshrrev_b32_e32 v1, s39, v1
	v_mul_lo_u32 v10, v3, s28
	v_mul_lo_u32 v3, v3, s29
	v_sub_nc_u32_e32 v2, v2, v8
	v_mul_lo_u32 v11, v1, s37
	v_mul_lo_u32 v8, v2, s26
	;; [unrolled: 1-line block ×3, first 2 shown]
	v_sub_nc_u32_e32 v5, v5, v11
	v_add3_u32 v0, v6, v0, v8
	v_mul_lo_u32 v11, v5, s30
	v_mul_lo_u32 v5, v5, s31
	v_add3_u32 v2, v9, v7, v2
	v_add3_u32 v0, v10, v0, v11
	;; [unrolled: 1-line block ×3, first 2 shown]
	s_cbranch_scc1 .LBB7_12
; %bb.13:
	s_and_b32 s6, s6, 3
	s_cmp_eq_u32 s6, 0
	s_cbranch_scc0 .LBB7_25
	s_branch .LBB7_27
.LBB7_14:
	s_or_b32 exec_lo, exec_lo, s30
	s_mov_b32 s30, exec_lo
	v_cmpx_gt_i32_e64 s27, v13
	s_cbranch_execz .LBB7_163
.LBB7_15:
	s_andn2_b32 vcc_lo, exec_lo, s24
	s_cbranch_vccnz .LBB7_22
; %bb.16:
	s_andn2_b32 vcc_lo, exec_lo, s29
	s_cbranch_vccnz .LBB7_138
; %bb.17:
	s_add_i32 s33, s28, 1
	s_cmp_eq_u32 s23, 2
	s_cbranch_scc1 .LBB7_171
; %bb.18:
	v_mov_b32_e32 v2, 0
	v_mov_b32_e32 v0, 0
	;; [unrolled: 1-line block ×3, first 2 shown]
	s_and_b32 s31, s33, 28
	s_mov_b32 s34, 0
	s_mov_b64 s[0:1], s[16:17]
	s_mov_b64 s[2:3], s[20:21]
.LBB7_19:                               ; =>This Inner Loop Header: Depth=1
	s_clause 0x1
	s_load_dwordx8 s[36:43], s[0:1], 0x4
	s_load_dwordx4 s[52:55], s[0:1], 0x24
	s_load_dwordx8 s[44:51], s[2:3], 0x0
	s_add_u32 s0, s0, 48
	s_addc_u32 s1, s1, 0
	s_add_i32 s34, s34, 4
	s_add_u32 s2, s2, 32
	s_addc_u32 s3, s3, 0
	s_cmp_eq_u32 s31, s34
	s_waitcnt lgkmcnt(0)
	v_mul_hi_u32 v3, s37, v1
	v_add_nc_u32_e32 v3, v1, v3
	v_lshrrev_b32_e32 v3, s38, v3
	v_mul_hi_u32 v4, s40, v3
	v_mul_lo_u32 v6, v3, s36
	v_add_nc_u32_e32 v4, v3, v4
	v_sub_nc_u32_e32 v1, v1, v6
	v_lshrrev_b32_e32 v4, s41, v4
	v_mul_lo_u32 v6, v1, s44
	v_mul_lo_u32 v8, v1, s45
	v_mul_hi_u32 v5, s43, v4
	v_add_nc_u32_e32 v5, v4, v5
	v_lshrrev_b32_e32 v5, s52, v5
	v_mul_hi_u32 v7, s54, v5
	v_mul_lo_u32 v9, v5, s42
	v_add_nc_u32_e32 v1, v5, v7
	v_mul_lo_u32 v7, v4, s39
	v_sub_nc_u32_e32 v4, v4, v9
	v_lshrrev_b32_e32 v1, s55, v1
	v_mul_lo_u32 v9, v4, s48
	v_mul_lo_u32 v4, v4, s49
	v_sub_nc_u32_e32 v3, v3, v7
	v_mul_lo_u32 v10, v1, s53
	v_mul_lo_u32 v7, v3, s46
	;; [unrolled: 1-line block ×3, first 2 shown]
	v_sub_nc_u32_e32 v5, v5, v10
	v_add3_u32 v0, v6, v0, v7
	v_mul_lo_u32 v10, v5, s50
	v_mul_lo_u32 v5, v5, s51
	v_add3_u32 v2, v8, v2, v3
	v_add3_u32 v0, v9, v0, v10
	;; [unrolled: 1-line block ×3, first 2 shown]
	s_cbranch_scc0 .LBB7_19
	s_branch .LBB7_172
.LBB7_20:
	s_waitcnt lgkmcnt(0)
	s_mov_b32 s4, -1
                                        ; implicit-def: $vgpr0
                                        ; implicit-def: $vgpr7
	s_branch .LBB7_27
.LBB7_21:
                                        ; implicit-def: $vgpr0
                                        ; implicit-def: $vgpr2
	s_branch .LBB7_144
.LBB7_22:
                                        ; implicit-def: $vgpr0
                                        ; implicit-def: $vgpr2
	s_branch .LBB7_176
.LBB7_23:
	v_mov_b32_e32 v0, 0
	v_mov_b32_e32 v7, 0
	s_branch .LBB7_27
.LBB7_24:
	v_mov_b32_e32 v0, 0
	v_mov_b32_e32 v7, 0
	v_mov_b32_e32 v1, v13
	s_mov_b32 s5, 0
	s_and_b32 s6, s6, 3
	s_cmp_eq_u32 s6, 0
	s_cbranch_scc1 .LBB7_27
.LBB7_25:
	s_lshl_b32 s0, s5, 3
	s_mul_i32 s2, s5, 12
	s_add_u32 s0, s16, s0
	s_addc_u32 s1, s17, 0
	s_add_u32 s0, s0, 0xc4
	s_addc_u32 s1, s1, 0
	;; [unrolled: 2-line block ×3, first 2 shown]
	.p2align	6
.LBB7_26:                               ; =>This Inner Loop Header: Depth=1
	s_clause 0x1
	s_load_dwordx2 s[8:9], s[2:3], 0x4
	s_load_dword s5, s[2:3], 0xc
	s_load_dwordx2 s[10:11], s[0:1], 0x0
	s_add_u32 s2, s2, 12
	s_addc_u32 s3, s3, 0
	s_add_u32 s0, s0, 8
	s_addc_u32 s1, s1, 0
	s_add_i32 s6, s6, -1
	s_cmp_lg_u32 s6, 0
	s_waitcnt lgkmcnt(0)
	v_mul_hi_u32 v2, s9, v1
	v_add_nc_u32_e32 v2, v1, v2
	v_lshrrev_b32_e32 v2, s5, v2
	v_mul_lo_u32 v3, v2, s8
	v_sub_nc_u32_e32 v3, v1, v3
	v_mad_u64_u32 v[0:1], null, v3, s10, v[0:1]
	v_mad_u64_u32 v[7:8], null, v3, s11, v[7:8]
	v_mov_b32_e32 v1, v2
	s_cbranch_scc1 .LBB7_26
.LBB7_27:
	s_andn2_b32 vcc_lo, exec_lo, s4
	s_cbranch_vccnz .LBB7_30
; %bb.28:
	s_clause 0x1
	s_load_dwordx4 s[0:3], s[16:17], 0x4
	s_load_dwordx2 s[4:5], s[16:17], 0xc4
	s_cmp_lt_u32 s22, 2
	s_waitcnt lgkmcnt(0)
	v_mul_hi_u32 v0, s1, v13
	v_add_nc_u32_e32 v0, v13, v0
	v_lshrrev_b32_e32 v1, s2, v0
	v_mul_lo_u32 v0, v1, s0
	v_sub_nc_u32_e32 v2, v13, v0
	v_mul_lo_u32 v0, v2, s4
	v_mul_lo_u32 v7, v2, s5
	s_cbranch_scc1 .LBB7_30
; %bb.29:
	s_clause 0x1
	s_load_dwordx4 s[0:3], s[16:17], 0x10
	s_load_dwordx2 s[4:5], s[16:17], 0xcc
	s_waitcnt lgkmcnt(0)
	v_mul_hi_u32 v2, s1, v1
	v_add_nc_u32_e32 v2, v1, v2
	v_lshrrev_b32_e32 v2, s2, v2
	v_mul_lo_u32 v2, v2, s0
	v_sub_nc_u32_e32 v2, v1, v2
	v_mad_u64_u32 v[0:1], null, v2, s4, v[0:1]
	v_mad_u64_u32 v[7:8], null, v2, s5, v[7:8]
.LBB7_30:
	v_cmp_ne_u32_e32 vcc_lo, 1, v4
	v_add_nc_u32_e32 v3, 0x80, v13
	s_cbranch_vccnz .LBB7_36
; %bb.31:
	s_cmp_lg_u32 s22, 0
	s_mov_b32 s4, 0
	s_cbranch_scc0 .LBB7_37
; %bb.32:
	s_min_u32 s6, s23, 15
	s_add_i32 s6, s6, 1
	s_cmp_eq_u32 s23, 2
	s_cbranch_scc1 .LBB7_38
; %bb.33:
	v_mov_b32_e32 v10, 0
	v_mov_b32_e32 v1, 0
	;; [unrolled: 1-line block ×3, first 2 shown]
	s_and_b32 s5, s6, 28
	s_add_u32 s0, s16, 0xc4
	s_addc_u32 s1, s17, 0
	s_mov_b32 s7, 0
	s_mov_b64 s[2:3], s[16:17]
.LBB7_34:                               ; =>This Inner Loop Header: Depth=1
	s_clause 0x1
	s_load_dwordx8 s[8:15], s[2:3], 0x4
	s_load_dwordx4 s[36:39], s[2:3], 0x24
	s_load_dwordx8 s[24:31], s[0:1], 0x0
	s_add_u32 s2, s2, 48
	s_addc_u32 s3, s3, 0
	s_add_i32 s7, s7, 4
	s_add_u32 s0, s0, 32
	s_addc_u32 s1, s1, 0
	s_cmp_lg_u32 s5, s7
	s_waitcnt lgkmcnt(0)
	v_mul_hi_u32 v5, s9, v2
	v_add_nc_u32_e32 v5, v2, v5
	v_lshrrev_b32_e32 v5, s10, v5
	v_mul_hi_u32 v6, s12, v5
	v_mul_lo_u32 v9, v5, s8
	v_add_nc_u32_e32 v6, v5, v6
	v_sub_nc_u32_e32 v2, v2, v9
	v_lshrrev_b32_e32 v6, s13, v6
	v_mul_lo_u32 v9, v2, s24
	v_mul_lo_u32 v14, v2, s25
	v_mul_hi_u32 v8, s15, v6
	v_add_nc_u32_e32 v8, v6, v8
	v_lshrrev_b32_e32 v8, s36, v8
	v_mul_hi_u32 v11, s38, v8
	v_mul_lo_u32 v15, v8, s14
	v_add_nc_u32_e32 v2, v8, v11
	v_mul_lo_u32 v11, v6, s11
	v_sub_nc_u32_e32 v6, v6, v15
	v_lshrrev_b32_e32 v2, s39, v2
	v_mul_lo_u32 v15, v6, s28
	v_mul_lo_u32 v6, v6, s29
	v_sub_nc_u32_e32 v5, v5, v11
	v_mul_lo_u32 v16, v2, s37
	v_mul_lo_u32 v11, v5, s26
	;; [unrolled: 1-line block ×3, first 2 shown]
	v_sub_nc_u32_e32 v8, v8, v16
	v_add3_u32 v1, v9, v1, v11
	v_mul_lo_u32 v16, v8, s30
	v_mul_lo_u32 v8, v8, s31
	v_add3_u32 v5, v14, v10, v5
	v_add3_u32 v1, v15, v1, v16
	;; [unrolled: 1-line block ×3, first 2 shown]
	s_cbranch_scc1 .LBB7_34
; %bb.35:
	s_and_b32 s6, s6, 3
	s_cmp_eq_u32 s6, 0
	s_cbranch_scc0 .LBB7_39
	s_branch .LBB7_41
.LBB7_36:
	s_mov_b32 s4, -1
                                        ; implicit-def: $vgpr1
                                        ; implicit-def: $vgpr10
	s_branch .LBB7_41
.LBB7_37:
	v_mov_b32_e32 v1, 0
	v_mov_b32_e32 v10, 0
	s_branch .LBB7_41
.LBB7_38:
	v_mov_b32_e32 v1, 0
	v_mov_b32_e32 v10, 0
	;; [unrolled: 1-line block ×3, first 2 shown]
	s_mov_b32 s5, 0
	s_and_b32 s6, s6, 3
	s_cmp_eq_u32 s6, 0
	s_cbranch_scc1 .LBB7_41
.LBB7_39:
	s_lshl_b32 s0, s5, 3
	s_mul_i32 s2, s5, 12
	s_add_u32 s0, s16, s0
	s_addc_u32 s1, s17, 0
	s_add_u32 s0, s0, 0xc4
	s_addc_u32 s1, s1, 0
	s_add_u32 s2, s16, s2
	s_addc_u32 s3, s17, 0
	.p2align	6
.LBB7_40:                               ; =>This Inner Loop Header: Depth=1
	s_clause 0x1
	s_load_dwordx2 s[8:9], s[2:3], 0x4
	s_load_dword s5, s[2:3], 0xc
	s_load_dwordx2 s[10:11], s[0:1], 0x0
	s_add_u32 s2, s2, 12
	s_addc_u32 s3, s3, 0
	s_add_u32 s0, s0, 8
	s_addc_u32 s1, s1, 0
	s_add_i32 s6, s6, -1
	s_cmp_lg_u32 s6, 0
	s_waitcnt lgkmcnt(0)
	v_mul_hi_u32 v5, s9, v2
	v_add_nc_u32_e32 v5, v2, v5
	v_lshrrev_b32_e32 v5, s5, v5
	v_mul_lo_u32 v6, v5, s8
	v_sub_nc_u32_e32 v6, v2, v6
	v_mad_u64_u32 v[1:2], null, v6, s10, v[1:2]
	v_mad_u64_u32 v[10:11], null, v6, s11, v[10:11]
	v_mov_b32_e32 v2, v5
	s_cbranch_scc1 .LBB7_40
.LBB7_41:
	s_andn2_b32 vcc_lo, exec_lo, s4
	s_cbranch_vccnz .LBB7_44
; %bb.42:
	s_clause 0x1
	s_load_dwordx4 s[0:3], s[16:17], 0x4
	s_load_dwordx2 s[4:5], s[16:17], 0xc4
	s_cmp_lt_u32 s22, 2
	s_waitcnt lgkmcnt(0)
	v_mul_hi_u32 v1, s1, v3
	v_add_nc_u32_e32 v1, v3, v1
	v_lshrrev_b32_e32 v2, s2, v1
	v_mul_lo_u32 v1, v2, s0
	v_sub_nc_u32_e32 v3, v3, v1
	v_mul_lo_u32 v1, v3, s4
	v_mul_lo_u32 v10, v3, s5
	s_cbranch_scc1 .LBB7_44
; %bb.43:
	s_clause 0x1
	s_load_dwordx4 s[0:3], s[16:17], 0x10
	s_load_dwordx2 s[4:5], s[16:17], 0xcc
	s_waitcnt lgkmcnt(0)
	v_mul_hi_u32 v3, s1, v2
	v_add_nc_u32_e32 v3, v2, v3
	v_lshrrev_b32_e32 v3, s2, v3
	v_mul_lo_u32 v3, v3, s0
	v_sub_nc_u32_e32 v3, v2, v3
	v_mad_u64_u32 v[1:2], null, v3, s4, v[1:2]
	v_mad_u64_u32 v[10:11], null, v3, s5, v[10:11]
.LBB7_44:
	v_cmp_ne_u32_e32 vcc_lo, 1, v4
	v_add_nc_u32_e32 v5, 0x100, v13
	s_cbranch_vccnz .LBB7_50
; %bb.45:
	s_cmp_lg_u32 s22, 0
	s_mov_b32 s4, 0
	s_cbranch_scc0 .LBB7_51
; %bb.46:
	s_min_u32 s6, s23, 15
	s_add_i32 s6, s6, 1
	s_cmp_eq_u32 s23, 2
	s_cbranch_scc1 .LBB7_52
; %bb.47:
	v_mov_b32_e32 v8, 0
	v_mov_b32_e32 v2, 0
	v_mov_b32_e32 v3, v5
	s_and_b32 s5, s6, 28
	s_add_u32 s0, s16, 0xc4
	s_addc_u32 s1, s17, 0
	s_mov_b32 s7, 0
	s_mov_b64 s[2:3], s[16:17]
.LBB7_48:                               ; =>This Inner Loop Header: Depth=1
	s_clause 0x1
	s_load_dwordx8 s[8:15], s[2:3], 0x4
	s_load_dwordx4 s[36:39], s[2:3], 0x24
	s_load_dwordx8 s[24:31], s[0:1], 0x0
	s_add_u32 s2, s2, 48
	s_addc_u32 s3, s3, 0
	s_add_i32 s7, s7, 4
	s_add_u32 s0, s0, 32
	s_addc_u32 s1, s1, 0
	s_cmp_lg_u32 s5, s7
	s_waitcnt lgkmcnt(0)
	v_mul_hi_u32 v6, s9, v3
	v_add_nc_u32_e32 v6, v3, v6
	v_lshrrev_b32_e32 v6, s10, v6
	v_mul_hi_u32 v9, s12, v6
	v_mul_lo_u32 v13, v6, s8
	v_add_nc_u32_e32 v9, v6, v9
	v_sub_nc_u32_e32 v3, v3, v13
	v_lshrrev_b32_e32 v9, s13, v9
	v_mul_lo_u32 v13, v3, s24
	v_mul_lo_u32 v15, v3, s25
	v_mul_hi_u32 v11, s15, v9
	v_add_nc_u32_e32 v11, v9, v11
	v_lshrrev_b32_e32 v11, s36, v11
	v_mul_hi_u32 v14, s38, v11
	v_mul_lo_u32 v16, v11, s14
	v_add_nc_u32_e32 v3, v11, v14
	v_mul_lo_u32 v14, v9, s11
	v_sub_nc_u32_e32 v9, v9, v16
	v_lshrrev_b32_e32 v3, s39, v3
	v_mul_lo_u32 v16, v9, s28
	v_mul_lo_u32 v9, v9, s29
	v_sub_nc_u32_e32 v6, v6, v14
	v_mul_lo_u32 v17, v3, s37
	v_mul_lo_u32 v14, v6, s26
	;; [unrolled: 1-line block ×3, first 2 shown]
	v_sub_nc_u32_e32 v11, v11, v17
	v_add3_u32 v2, v13, v2, v14
	v_mul_lo_u32 v17, v11, s30
	v_mul_lo_u32 v11, v11, s31
	v_add3_u32 v6, v15, v8, v6
	v_add3_u32 v2, v16, v2, v17
	v_add3_u32 v8, v9, v6, v11
	s_cbranch_scc1 .LBB7_48
; %bb.49:
	s_and_b32 s6, s6, 3
	s_cmp_eq_u32 s6, 0
	s_cbranch_scc0 .LBB7_53
	s_branch .LBB7_55
.LBB7_50:
	s_mov_b32 s4, -1
                                        ; implicit-def: $vgpr2
                                        ; implicit-def: $vgpr8
	s_branch .LBB7_55
.LBB7_51:
	v_mov_b32_e32 v2, 0
	v_mov_b32_e32 v8, 0
	s_branch .LBB7_55
.LBB7_52:
	v_mov_b32_e32 v2, 0
	v_mov_b32_e32 v8, 0
	v_mov_b32_e32 v3, v5
	s_mov_b32 s5, 0
	s_and_b32 s6, s6, 3
	s_cmp_eq_u32 s6, 0
	s_cbranch_scc1 .LBB7_55
.LBB7_53:
	s_lshl_b32 s0, s5, 3
	s_mul_i32 s2, s5, 12
	s_add_u32 s0, s16, s0
	s_addc_u32 s1, s17, 0
	s_add_u32 s0, s0, 0xc4
	s_addc_u32 s1, s1, 0
	;; [unrolled: 2-line block ×3, first 2 shown]
	.p2align	6
.LBB7_54:                               ; =>This Inner Loop Header: Depth=1
	s_clause 0x1
	s_load_dwordx2 s[8:9], s[2:3], 0x4
	s_load_dword s5, s[2:3], 0xc
	s_load_dwordx2 s[10:11], s[0:1], 0x0
	s_add_u32 s2, s2, 12
	s_addc_u32 s3, s3, 0
	s_add_u32 s0, s0, 8
	s_addc_u32 s1, s1, 0
	s_add_i32 s6, s6, -1
	s_cmp_lg_u32 s6, 0
	s_waitcnt lgkmcnt(0)
	v_mul_hi_u32 v6, s9, v3
	v_add_nc_u32_e32 v6, v3, v6
	v_lshrrev_b32_e32 v6, s5, v6
	v_mul_lo_u32 v9, v6, s8
	v_sub_nc_u32_e32 v9, v3, v9
	v_mad_u64_u32 v[2:3], null, v9, s10, v[2:3]
	v_mad_u64_u32 v[8:9], null, v9, s11, v[8:9]
	v_mov_b32_e32 v3, v6
	s_cbranch_scc1 .LBB7_54
.LBB7_55:
	s_andn2_b32 vcc_lo, exec_lo, s4
	s_cbranch_vccnz .LBB7_58
; %bb.56:
	s_clause 0x1
	s_load_dwordx4 s[0:3], s[16:17], 0x4
	s_load_dwordx2 s[4:5], s[16:17], 0xc4
	s_cmp_lt_u32 s22, 2
	s_waitcnt lgkmcnt(0)
	v_mul_hi_u32 v2, s1, v5
	v_add_nc_u32_e32 v2, v5, v2
	v_lshrrev_b32_e32 v3, s2, v2
	v_mul_lo_u32 v2, v3, s0
	v_sub_nc_u32_e32 v5, v5, v2
	v_mul_lo_u32 v2, v5, s4
	v_mul_lo_u32 v8, v5, s5
	s_cbranch_scc1 .LBB7_58
; %bb.57:
	s_clause 0x1
	s_load_dwordx4 s[0:3], s[16:17], 0x10
	s_load_dwordx2 s[4:5], s[16:17], 0xcc
	s_waitcnt lgkmcnt(0)
	v_mul_hi_u32 v5, s1, v3
	v_add_nc_u32_e32 v5, v3, v5
	v_lshrrev_b32_e32 v5, s2, v5
	v_mul_lo_u32 v5, v5, s0
	v_sub_nc_u32_e32 v5, v3, v5
	v_mad_u64_u32 v[2:3], null, v5, s4, v[2:3]
	v_mad_u64_u32 v[8:9], null, v5, s5, v[8:9]
.LBB7_58:
	v_cmp_ne_u32_e32 vcc_lo, 1, v4
	s_cbranch_vccnz .LBB7_64
; %bb.59:
	s_cmp_lg_u32 s22, 0
	s_mov_b32 s4, 0
	s_cbranch_scc0 .LBB7_65
; %bb.60:
	s_min_u32 s6, s23, 15
	s_add_i32 s6, s6, 1
	s_cmp_eq_u32 s23, 2
	s_cbranch_scc1 .LBB7_66
; %bb.61:
	v_mov_b32_e32 v5, 0
	v_mov_b32_e32 v3, 0
	v_mov_b32_e32 v4, v12
	s_and_b32 s5, s6, 28
	s_add_u32 s0, s16, 0xc4
	s_addc_u32 s1, s17, 0
	s_mov_b32 s7, 0
	s_mov_b64 s[2:3], s[16:17]
.LBB7_62:                               ; =>This Inner Loop Header: Depth=1
	s_clause 0x1
	s_load_dwordx8 s[8:15], s[2:3], 0x4
	s_load_dwordx4 s[36:39], s[2:3], 0x24
	s_load_dwordx8 s[24:31], s[0:1], 0x0
	s_add_u32 s2, s2, 48
	s_addc_u32 s3, s3, 0
	s_add_i32 s7, s7, 4
	s_add_u32 s0, s0, 32
	s_addc_u32 s1, s1, 0
	s_cmp_lg_u32 s5, s7
	s_waitcnt lgkmcnt(0)
	v_mul_hi_u32 v6, s9, v4
	v_add_nc_u32_e32 v6, v4, v6
	v_lshrrev_b32_e32 v6, s10, v6
	v_mul_hi_u32 v9, s12, v6
	v_mul_lo_u32 v13, v6, s8
	v_add_nc_u32_e32 v9, v6, v9
	v_sub_nc_u32_e32 v4, v4, v13
	v_lshrrev_b32_e32 v9, s13, v9
	v_mul_lo_u32 v13, v4, s24
	v_mul_lo_u32 v15, v4, s25
	v_mul_hi_u32 v11, s15, v9
	v_add_nc_u32_e32 v11, v9, v11
	v_lshrrev_b32_e32 v11, s36, v11
	v_mul_hi_u32 v14, s38, v11
	v_mul_lo_u32 v16, v11, s14
	v_add_nc_u32_e32 v4, v11, v14
	v_mul_lo_u32 v14, v9, s11
	v_sub_nc_u32_e32 v9, v9, v16
	v_lshrrev_b32_e32 v4, s39, v4
	v_mul_lo_u32 v16, v9, s28
	v_mul_lo_u32 v9, v9, s29
	v_sub_nc_u32_e32 v6, v6, v14
	v_mul_lo_u32 v17, v4, s37
	v_mul_lo_u32 v14, v6, s26
	;; [unrolled: 1-line block ×3, first 2 shown]
	v_sub_nc_u32_e32 v11, v11, v17
	v_add3_u32 v3, v13, v3, v14
	v_mul_lo_u32 v17, v11, s30
	v_mul_lo_u32 v11, v11, s31
	v_add3_u32 v5, v15, v5, v6
	v_add3_u32 v3, v16, v3, v17
	;; [unrolled: 1-line block ×3, first 2 shown]
	s_cbranch_scc1 .LBB7_62
; %bb.63:
	s_and_b32 s6, s6, 3
	s_cmp_eq_u32 s6, 0
	s_cbranch_scc0 .LBB7_67
	s_branch .LBB7_69
.LBB7_64:
	s_mov_b32 s4, -1
                                        ; implicit-def: $vgpr3
                                        ; implicit-def: $vgpr5
	s_branch .LBB7_69
.LBB7_65:
	v_mov_b32_e32 v3, 0
	v_mov_b32_e32 v5, 0
	s_branch .LBB7_69
.LBB7_66:
	v_mov_b32_e32 v3, 0
	v_mov_b32_e32 v5, 0
	;; [unrolled: 1-line block ×3, first 2 shown]
	s_mov_b32 s5, 0
	s_and_b32 s6, s6, 3
	s_cmp_eq_u32 s6, 0
	s_cbranch_scc1 .LBB7_69
.LBB7_67:
	s_lshl_b32 s0, s5, 3
	s_mul_i32 s2, s5, 12
	s_add_u32 s0, s16, s0
	s_addc_u32 s1, s17, 0
	s_add_u32 s0, s0, 0xc4
	s_addc_u32 s1, s1, 0
	;; [unrolled: 2-line block ×3, first 2 shown]
	.p2align	6
.LBB7_68:                               ; =>This Inner Loop Header: Depth=1
	s_clause 0x1
	s_load_dwordx2 s[8:9], s[2:3], 0x4
	s_load_dword s5, s[2:3], 0xc
	s_load_dwordx2 s[10:11], s[0:1], 0x0
	s_add_u32 s2, s2, 12
	s_addc_u32 s3, s3, 0
	s_add_u32 s0, s0, 8
	s_addc_u32 s1, s1, 0
	s_add_i32 s6, s6, -1
	s_cmp_lg_u32 s6, 0
	s_waitcnt lgkmcnt(0)
	v_mul_hi_u32 v6, s9, v4
	v_add_nc_u32_e32 v6, v4, v6
	v_lshrrev_b32_e32 v9, s5, v6
	v_mul_lo_u32 v6, v9, s8
	v_sub_nc_u32_e32 v6, v4, v6
	v_mad_u64_u32 v[3:4], null, v6, s10, v[3:4]
	v_mad_u64_u32 v[5:6], null, v6, s11, v[5:6]
	v_mov_b32_e32 v4, v9
	s_cbranch_scc1 .LBB7_68
.LBB7_69:
	s_andn2_b32 vcc_lo, exec_lo, s4
	s_cbranch_vccnz .LBB7_72
; %bb.70:
	s_clause 0x1
	s_load_dwordx4 s[0:3], s[16:17], 0x4
	s_load_dwordx2 s[4:5], s[16:17], 0xc4
	s_cmp_lt_u32 s22, 2
	s_waitcnt lgkmcnt(0)
	v_mul_hi_u32 v3, s1, v12
	v_add_nc_u32_e32 v3, v12, v3
	v_lshrrev_b32_e32 v4, s2, v3
	v_mul_lo_u32 v3, v4, s0
	v_sub_nc_u32_e32 v5, v12, v3
	v_mul_lo_u32 v3, v5, s4
	v_mul_lo_u32 v5, v5, s5
	s_cbranch_scc1 .LBB7_72
; %bb.71:
	s_clause 0x1
	s_load_dwordx4 s[0:3], s[16:17], 0x10
	s_load_dwordx2 s[4:5], s[16:17], 0xcc
	s_waitcnt lgkmcnt(0)
	v_mul_hi_u32 v6, s1, v4
	v_add_nc_u32_e32 v6, v4, v6
	v_lshrrev_b32_e32 v6, s2, v6
	v_mul_lo_u32 v6, v6, s0
	v_sub_nc_u32_e32 v6, v4, v6
	v_mad_u64_u32 v[3:4], null, v6, s4, v[3:4]
	v_mad_u64_u32 v[5:6], null, v6, s5, v[5:6]
.LBB7_72:
	s_load_dwordx4 s[4:7], s[16:17], 0x148
	s_mov_b32 s0, exec_lo
	s_waitcnt lgkmcnt(0)
	global_load_dwordx2 v[11:12], v7, s[6:7]
                                        ; implicit-def: $vgpr6_vgpr7
	s_waitcnt vmcnt(0)
	v_cmpx_ge_f64_e32 0x40140000, v[11:12]
	s_xor_b32 s2, exec_lo, s0
	s_cbranch_execz .LBB7_78
; %bb.73:
	v_mov_b32_e32 v6, 0
	v_mov_b32_e32 v7, 0xfff00000
	s_mov_b32 s3, exec_lo
	v_cmpx_neq_f64_e32 0, v[11:12]
	s_cbranch_execz .LBB7_77
; %bb.74:
	v_mov_b32_e32 v6, 0
	v_mov_b32_e32 v7, 0x7ff80000
	s_mov_b32 s8, exec_lo
	v_cmpx_nge_f64_e32 0, v[11:12]
	s_cbranch_execz .LBB7_76
; %bb.75:
	v_frexp_mant_f64_e32 v[6:7], v[11:12]
	s_mov_b32 s1, 0x3fe55555
	s_mov_b32 s0, 0x55555555
	;; [unrolled: 1-line block ×10, first 2 shown]
	v_cmp_gt_f64_e32 vcc_lo, s[0:1], v[6:7]
	s_mov_b32 s0, 0x55555780
	v_cndmask_b32_e64 v4, 0, 1, vcc_lo
	v_ldexp_f64 v[6:7], v[6:7], v4
	v_frexp_exp_i32_f64_e32 v4, v[11:12]
	v_add_f64 v[13:14], v[6:7], 1.0
	v_add_f64 v[19:20], v[6:7], -1.0
	v_subrev_co_ci_u32_e64 v4, null, 0, v4, vcc_lo
	v_rcp_f64_e32 v[15:16], v[13:14]
	v_add_f64 v[21:22], v[13:14], -1.0
	v_add_f64 v[6:7], v[6:7], -v[21:22]
	v_fma_f64 v[17:18], -v[13:14], v[15:16], 1.0
	v_fma_f64 v[15:16], v[17:18], v[15:16], v[15:16]
	v_fma_f64 v[17:18], -v[13:14], v[15:16], 1.0
	v_fma_f64 v[15:16], v[17:18], v[15:16], v[15:16]
	v_mul_f64 v[17:18], v[19:20], v[15:16]
	v_mul_f64 v[23:24], v[13:14], v[17:18]
	v_fma_f64 v[13:14], v[17:18], v[13:14], -v[23:24]
	v_fma_f64 v[6:7], v[17:18], v[6:7], v[13:14]
	v_add_f64 v[13:14], v[23:24], v[6:7]
	v_add_f64 v[21:22], v[19:20], -v[13:14]
	v_add_f64 v[23:24], v[13:14], -v[23:24]
	;; [unrolled: 1-line block ×5, first 2 shown]
	v_add_f64 v[6:7], v[6:7], v[13:14]
	v_add_f64 v[6:7], v[21:22], v[6:7]
	v_mul_f64 v[21:22], v[11:12], v[11:12]
	v_mul_f64 v[6:7], v[15:16], v[6:7]
	v_add_f64 v[13:14], v[17:18], v[6:7]
	v_mul_f64 v[15:16], v[13:14], v[13:14]
	v_ldexp_f64 v[31:32], v[13:14], 1
	v_fma_f64 v[19:20], v[15:16], s[12:13], s[10:11]
	s_mov_b32 s10, 0xd7f4df2e
	s_mov_b32 s11, 0x3fc7474d
	;; [unrolled: 1-line block ×4, first 2 shown]
	v_mul_f64 v[29:30], v[13:14], v[15:16]
	v_fma_f64 v[25:26], v[21:22], 0, s[12:13]
	s_mov_b32 s12, 0xdd701b2
	s_mov_b32 s13, 0x410f5eda
	v_add_f64 v[13:14], v[13:14], -v[17:18]
	v_fma_f64 v[19:20], v[15:16], v[19:20], s[10:11]
	s_mov_b32 s10, 0xa93f7ac2
	s_mov_b32 s11, 0x40829269
	v_fma_f64 v[23:24], v[21:22], 0, s[10:11]
	s_mov_b32 s10, 0x16291751
	s_mov_b32 s11, 0x3fcc71c0
	v_fma_f64 v[25:26], v[21:22], v[25:26], s[12:13]
	s_mov_b32 s12, 0xa9c8acee
	s_mov_b32 s13, 0x419184ef
	v_add_f64 v[6:7], v[6:7], -v[13:14]
	v_fma_f64 v[19:20], v[15:16], v[19:20], s[10:11]
	s_mov_b32 s10, 0xbe58ef7f
	s_mov_b32 s11, 0x410cc160
	v_fma_f64 v[23:24], v[21:22], v[23:24], s[10:11]
	s_mov_b32 s10, 0x9b27acf1
	s_mov_b32 s11, 0x3fd24924
	;; [unrolled: 3-line block ×3, first 2 shown]
	v_ldexp_f64 v[6:7], v[6:7], 1
	v_fma_f64 v[19:20], v[15:16], v[19:20], s[10:11]
	s_mov_b32 s10, 0x62f9b6c5
	s_mov_b32 s11, 0x41d2d2be
	v_fma_f64 v[27:28], v[21:22], 0, s[10:11]
	v_fma_f64 v[23:24], v[21:22], v[23:24], s[12:13]
	s_mov_b32 s10, 0x998ef7b6
	s_mov_b32 s11, 0x3fd99999
	;; [unrolled: 1-line block ×4, first 2 shown]
	v_fma_f64 v[25:26], v[21:22], v[25:26], s[14:15]
	s_mov_b32 s14, 0x8076ffa8
	s_mov_b32 s15, 0x429146fb
	v_fma_f64 v[19:20], v[15:16], v[19:20], s[10:11]
	s_mov_b32 s10, 0x58836521
	s_mov_b32 s11, 0xc262d72d
	v_fma_f64 v[27:28], v[21:22], v[27:28], s[10:11]
	v_fma_f64 v[23:24], v[21:22], v[23:24], s[12:13]
	s_mov_b32 s10, 0xfda99316
	s_mov_b32 s12, 0x4cda4fc5
	;; [unrolled: 1-line block ×4, first 2 shown]
	v_fma_f64 v[25:26], v[21:22], v[25:26], s[14:15]
	s_mov_b32 s14, 0x3eccf45f
	s_mov_b32 s15, 0x43064b0a
	v_fma_f64 v[15:16], v[15:16], v[19:20], s[0:1]
	s_mov_b32 s0, 0xb0910fef
	s_mov_b32 s1, 0x42da0954
	v_fma_f64 v[19:20], v[21:22], v[27:28], s[0:1]
	v_fma_f64 v[23:24], v[21:22], v[23:24], s[10:11]
	v_fma_f64 v[27:28], v[21:22], 0, s[12:13]
	s_mov_b32 s0, 0x37a1b083
	s_mov_b32 s10, 0xd71d1e4e
	;; [unrolled: 1-line block ×6, first 2 shown]
	v_fma_f64 v[25:26], v[21:22], v[25:26], s[14:15]
	s_mov_b32 s14, 0xf4653f81
	s_mov_b32 s15, 0x4373e0bf
	v_mul_f64 v[15:16], v[29:30], v[15:16]
	v_cvt_f64_i32_e32 v[29:30], v4
	v_fma_f64 v[19:20], v[21:22], v[19:20], s[0:1]
	v_fma_f64 v[23:24], v[21:22], v[23:24], s[10:11]
	;; [unrolled: 1-line block ×3, first 2 shown]
	s_mov_b32 s0, 0xb7366b1
	s_mov_b32 s10, 0xc547a488
	;; [unrolled: 1-line block ×6, first 2 shown]
	v_fma_f64 v[25:26], v[21:22], v[25:26], s[14:15]
	s_mov_b32 s14, 0xa697c482
	s_mov_b32 s15, 0x432a2b42
	v_add_f64 v[17:18], v[31:32], v[15:16]
	v_mul_f64 v[33:34], v[29:30], s[16:17]
	v_fma_f64 v[19:20], v[21:22], v[19:20], s[0:1]
	v_fma_f64 v[23:24], v[21:22], v[23:24], s[10:11]
	;; [unrolled: 1-line block ×3, first 2 shown]
	s_mov_b32 s0, 0x90f6747f
	s_mov_b32 s10, 0x5dde2b17
	;; [unrolled: 1-line block ×6, first 2 shown]
	v_add_f64 v[13:14], v[17:18], -v[31:32]
	v_fma_f64 v[19:20], v[21:22], v[19:20], s[10:11]
	v_fma_f64 v[23:24], v[21:22], v[23:24], s[0:1]
	;; [unrolled: 1-line block ×4, first 2 shown]
	v_fma_f64 v[25:26], v[29:30], s[16:17], -v[33:34]
	s_mov_b32 s0, 0x3b39803f
	s_mov_b32 s1, 0x3c7abc9e
	v_add_f64 v[13:14], v[15:16], -v[13:14]
	v_div_scale_f64 v[15:16], null, v[23:24], v[23:24], v[19:20]
	v_div_scale_f64 v[31:32], null, v[21:22], v[21:22], v[27:28]
	v_fma_f64 v[25:26], v[29:30], s[0:1], v[25:26]
	v_add_f64 v[6:7], v[6:7], v[13:14]
	v_rcp_f64_e32 v[13:14], v[15:16]
	v_rcp_f64_e32 v[29:30], v[31:32]
	v_add_f64 v[35:36], v[33:34], v[25:26]
	v_add_f64 v[37:38], v[17:18], v[6:7]
	v_fma_f64 v[39:40], -v[15:16], v[13:14], 1.0
	v_fma_f64 v[41:42], -v[31:32], v[29:30], 1.0
	v_add_f64 v[33:34], v[35:36], -v[33:34]
	v_add_f64 v[43:44], v[35:36], v[37:38]
	v_add_f64 v[17:18], v[37:38], -v[17:18]
	v_fma_f64 v[13:14], v[13:14], v[39:40], v[13:14]
	v_fma_f64 v[29:30], v[29:30], v[41:42], v[29:30]
	v_div_scale_f64 v[41:42], null, v[11:12], v[11:12], -1.0
	v_add_f64 v[25:26], v[25:26], -v[33:34]
	v_div_scale_f64 v[33:34], vcc_lo, v[19:20], v[23:24], v[19:20]
	v_add_f64 v[39:40], v[43:44], -v[35:36]
	v_add_f64 v[6:7], v[6:7], -v[17:18]
	v_fma_f64 v[45:46], -v[15:16], v[13:14], 1.0
	v_fma_f64 v[47:48], -v[31:32], v[29:30], 1.0
	v_rcp_f64_e32 v[51:52], v[41:42]
	v_add_f64 v[49:50], v[43:44], -v[39:40]
	v_add_f64 v[17:18], v[37:38], -v[39:40]
	v_fma_f64 v[13:14], v[13:14], v[45:46], v[13:14]
	v_div_scale_f64 v[45:46], s0, v[27:28], v[21:22], v[27:28]
	v_fma_f64 v[29:30], v[29:30], v[47:48], v[29:30]
	v_fma_f64 v[37:38], -v[41:42], v[51:52], 1.0
	v_add_f64 v[35:36], v[35:36], -v[49:50]
	v_add_f64 v[49:50], v[25:26], v[6:7]
	v_mul_f64 v[39:40], v[33:34], v[13:14]
	v_mul_f64 v[47:48], v[45:46], v[29:30]
	v_add_f64 v[17:18], v[17:18], v[35:36]
	v_fma_f64 v[35:36], v[51:52], v[37:38], v[51:52]
	v_fma_f64 v[15:16], -v[15:16], v[39:40], v[33:34]
	v_add_f64 v[33:34], v[49:50], -v[25:26]
	v_fma_f64 v[31:32], -v[31:32], v[47:48], v[45:46]
	v_add_f64 v[17:18], v[49:50], v[17:18]
	v_fma_f64 v[37:38], -v[41:42], v[35:36], 1.0
	v_div_fmas_f64 v[13:14], v[15:16], v[13:14], v[39:40]
	s_mov_b32 vcc_lo, s0
	v_add_f64 v[6:7], v[6:7], -v[33:34]
	v_div_fmas_f64 v[15:16], v[31:32], v[29:30], v[47:48]
	v_add_f64 v[29:30], v[49:50], -v[33:34]
	v_div_scale_f64 v[39:40], vcc_lo, -1.0, v[11:12], -1.0
	s_mov_b32 s0, 0x4189822c
	s_mov_b32 s1, 0xc02d5d2b
	v_add_f64 v[31:32], v[43:44], v[17:18]
	v_fma_f64 v[35:36], v[35:36], v[37:38], v[35:36]
	v_div_fixup_f64 v[13:14], v[13:14], v[23:24], v[19:20]
	v_div_fixup_f64 v[15:16], v[15:16], v[21:22], v[27:28]
	v_add_f64 v[21:22], v[25:26], -v[29:30]
	v_fma_f64 v[29:30], v[11:12], v[11:12], s[0:1]
	s_mov_b32 s0, 0x6072a432
	s_mov_b32 s1, 0xc0489bf6
	v_add_f64 v[25:26], v[31:32], -v[43:44]
	v_mul_f64 v[27:28], v[39:40], v[35:36]
	v_mul_f64 v[15:16], v[11:12], v[15:16]
	v_add_f64 v[6:7], v[6:7], v[21:22]
	v_add_f64 v[17:18], v[17:18], -v[25:26]
	v_fma_f64 v[21:22], -v[41:42], v[27:28], v[39:40]
	v_fma_f64 v[25:26], v[11:12], v[11:12], s[0:1]
	s_mov_b32 s0, 0x6dc9c883
	s_mov_b32 s1, 0x3fe45f30
	v_mul_f64 v[15:16], v[29:30], v[15:16]
	v_add_f64 v[6:7], v[6:7], v[17:18]
	v_div_fmas_f64 v[17:18], v[21:22], v[35:36], v[27:28]
	v_mul_f64 v[15:16], v[25:26], v[15:16]
	v_add_f64 v[6:7], v[31:32], v[6:7]
	v_div_fixup_f64 v[17:18], v[17:18], v[11:12], -1.0
	v_fma_f64 v[6:7], v[15:16], v[6:7], v[17:18]
	v_mul_f64 v[6:7], v[6:7], s[0:1]
	v_fma_f64 v[6:7], v[11:12], v[13:14], v[6:7]
.LBB7_76:
	s_or_b32 exec_lo, exec_lo, s8
.LBB7_77:
	s_or_b32 exec_lo, exec_lo, s3
                                        ; implicit-def: $vgpr11_vgpr12
.LBB7_78:
	s_andn2_saveexec_b32 s3, s2
	s_cbranch_execz .LBB7_88
; %bb.79:
	s_mov_b32 s0, 0x7f3321d2
	s_mov_b32 s1, 0xc002d97c
                                        ; implicit-def: $vgpr4
                                        ; implicit-def: $vgpr13_vgpr14
                                        ; implicit-def: $vgpr15_vgpr16
	v_add_f64 v[6:7], v[11:12], s[0:1]
	v_cmp_ngt_f64_e64 s0, 0x41d00000, |v[6:7]|
	v_trig_preop_f64 v[25:26], |v[6:7]|, 0
	v_trig_preop_f64 v[23:24], |v[6:7]|, 1
	v_ldexp_f64 v[27:28], |v[6:7]|, 0xffffff80
	v_trig_preop_f64 v[21:22], |v[6:7]|, 2
	v_and_b32_e32 v29, 0x7fffffff, v7
	s_and_saveexec_b32 s1, s0
	s_xor_b32 s1, exec_lo, s1
	s_cbranch_execz .LBB7_81
; %bb.80:
	v_cmp_le_f64_e64 vcc_lo, 0x7b000000, |v[6:7]|
	v_mov_b32_e32 v42, 0
	s_mov_b32 s8, 0x54442d18
	s_mov_b32 s9, 0x3ff921fb
	;; [unrolled: 1-line block ×4, first 2 shown]
	v_cndmask_b32_e32 v14, v29, v28, vcc_lo
	v_cndmask_b32_e32 v13, v6, v27, vcc_lo
	v_mul_f64 v[15:16], v[25:26], v[13:14]
	v_mul_f64 v[17:18], v[23:24], v[13:14]
	;; [unrolled: 1-line block ×3, first 2 shown]
	v_fma_f64 v[19:20], v[25:26], v[13:14], -v[15:16]
	v_fma_f64 v[40:41], v[23:24], v[13:14], -v[17:18]
	;; [unrolled: 1-line block ×3, first 2 shown]
	v_add_f64 v[30:31], v[17:18], v[19:20]
	v_add_f64 v[32:33], v[30:31], -v[17:18]
	v_add_f64 v[36:37], v[15:16], v[30:31]
	v_add_f64 v[34:35], v[30:31], -v[32:33]
	v_add_f64 v[19:20], v[19:20], -v[32:33]
	v_ldexp_f64 v[32:33], v[36:37], -2
	v_add_f64 v[15:16], v[36:37], -v[15:16]
	v_add_f64 v[17:18], v[17:18], -v[34:35]
	v_add_f64 v[34:35], v[38:39], v[40:41]
	v_cmp_neq_f64_e64 vcc_lo, 0x7ff00000, |v[32:33]|
	v_add_f64 v[15:16], v[30:31], -v[15:16]
	v_add_f64 v[17:18], v[19:20], v[17:18]
	v_fract_f64_e32 v[19:20], v[32:33]
	v_add_f64 v[30:31], v[34:35], v[17:18]
	v_ldexp_f64 v[19:20], v[19:20], 2
	v_add_f64 v[32:33], v[15:16], v[30:31]
	v_cndmask_b32_e32 v20, 0, v20, vcc_lo
	v_cndmask_b32_e32 v19, 0, v19, vcc_lo
	v_add_f64 v[36:37], v[32:33], v[19:20]
	v_add_f64 v[15:16], v[32:33], -v[15:16]
	v_cmp_gt_f64_e32 vcc_lo, 0, v[36:37]
	v_add_f64 v[36:37], v[34:35], -v[38:39]
	v_add_f64 v[15:16], v[30:31], -v[15:16]
	v_cndmask_b32_e64 v43, 0, 0x40100000, vcc_lo
	v_add_f64 v[47:48], v[34:35], -v[36:37]
	v_add_f64 v[36:37], v[40:41], -v[36:37]
	v_add_f64 v[19:20], v[19:20], v[42:43]
	v_add_f64 v[43:44], v[30:31], -v[34:35]
	v_add_f64 v[40:41], v[38:39], -v[47:48]
	v_add_f64 v[45:46], v[32:33], v[19:20]
	;; [unrolled: 3-line block ×3, first 2 shown]
	v_cvt_i32_f64_e32 v4, v[45:46]
	v_add_f64 v[34:35], v[34:35], -v[49:50]
	v_cvt_f64_i32_e32 v[43:44], v4
	v_add_f64 v[17:18], v[17:18], v[34:35]
	v_add_f64 v[19:20], v[19:20], -v[43:44]
	v_add_f64 v[17:18], v[36:37], v[17:18]
	v_add_f64 v[34:35], v[32:33], v[19:20]
	;; [unrolled: 1-line block ×3, first 2 shown]
	v_add_f64 v[17:18], v[34:35], -v[19:20]
	v_cmp_le_f64_e32 vcc_lo, 0.5, v[34:35]
	v_add_f64 v[13:14], v[15:16], v[13:14]
	v_add_f64 v[15:16], v[32:33], -v[17:18]
	v_cndmask_b32_e64 v43, 0, 0x3ff00000, vcc_lo
	v_add_co_ci_u32_e64 v4, null, 0, v4, vcc_lo
	v_add_f64 v[13:14], v[13:14], v[15:16]
	v_add_f64 v[15:16], v[34:35], -v[42:43]
	v_add_f64 v[17:18], v[15:16], v[13:14]
	v_mul_f64 v[19:20], v[17:18], s[8:9]
	v_add_f64 v[15:16], v[17:18], -v[15:16]
	v_fma_f64 v[30:31], v[17:18], s[8:9], -v[19:20]
	v_add_f64 v[13:14], v[13:14], -v[15:16]
	v_fma_f64 v[15:16], v[17:18], s[10:11], v[30:31]
	v_fma_f64 v[15:16], v[13:14], s[8:9], v[15:16]
	v_add_f64 v[13:14], v[19:20], v[15:16]
	v_add_f64 v[17:18], v[13:14], -v[19:20]
	v_add_f64 v[15:16], v[15:16], -v[17:18]
	s_andn2_saveexec_b32 s1, s1
	s_cbranch_execz .LBB7_83
	s_branch .LBB7_82
.LBB7_81:
	s_andn2_saveexec_b32 s1, s1
	s_cbranch_execz .LBB7_83
.LBB7_82:
	s_mov_b32 s8, 0x6dc9c883
	s_mov_b32 s9, 0x3fe45f30
	;; [unrolled: 1-line block ×3, first 2 shown]
	v_mul_f64 v[13:14], |v[6:7]|, s[8:9]
	s_mov_b32 s8, 0x54442d18
	s_mov_b32 s9, 0xbff921fb
	;; [unrolled: 1-line block ×3, first 2 shown]
	v_rndne_f64_e32 v[17:18], v[13:14]
	v_fma_f64 v[13:14], v[17:18], s[8:9], |v[6:7]|
	v_mul_f64 v[15:16], v[17:18], s[10:11]
	s_mov_b32 s8, 0x252049c0
	s_mov_b32 s9, 0xb97b839a
	v_cvt_i32_f64_e32 v4, v[17:18]
	v_fma_f64 v[30:31], v[17:18], s[10:11], v[13:14]
	v_add_f64 v[19:20], v[13:14], v[15:16]
	s_mov_b32 s11, 0x3c91a626
	v_add_f64 v[13:14], v[13:14], -v[19:20]
	v_add_f64 v[19:20], v[19:20], -v[30:31]
	v_add_f64 v[13:14], v[13:14], v[15:16]
	v_fma_f64 v[15:16], v[17:18], s[10:11], v[15:16]
	v_add_f64 v[13:14], v[19:20], v[13:14]
	v_add_f64 v[13:14], v[13:14], -v[15:16]
	v_fma_f64 v[15:16], v[17:18], s[8:9], v[13:14]
	v_add_f64 v[13:14], v[30:31], v[15:16]
	v_add_f64 v[19:20], v[13:14], -v[30:31]
	v_add_f64 v[15:16], v[15:16], -v[19:20]
.LBB7_83:
	s_or_b32 exec_lo, exec_lo, s1
                                        ; implicit-def: $vgpr9
                                        ; implicit-def: $vgpr17_vgpr18
                                        ; implicit-def: $vgpr19_vgpr20
	s_and_saveexec_b32 s1, s0
	s_xor_b32 s0, exec_lo, s1
	s_cbranch_execz .LBB7_85
; %bb.84:
	v_cmp_le_f64_e64 vcc_lo, 0x7b000000, |v[6:7]|
	v_mov_b32_e32 v39, 0
	s_mov_b32 s8, 0x54442d18
	s_mov_b32 s9, 0x3ff921fb
	;; [unrolled: 1-line block ×4, first 2 shown]
	v_cndmask_b32_e32 v18, v29, v28, vcc_lo
	v_cndmask_b32_e32 v17, v6, v27, vcc_lo
	v_mul_f64 v[19:20], v[25:26], v[17:18]
	v_mul_f64 v[27:28], v[23:24], v[17:18]
	;; [unrolled: 1-line block ×3, first 2 shown]
	v_fma_f64 v[25:26], v[25:26], v[17:18], -v[19:20]
	v_fma_f64 v[23:24], v[23:24], v[17:18], -v[27:28]
	;; [unrolled: 1-line block ×3, first 2 shown]
	v_add_f64 v[29:30], v[27:28], v[25:26]
	v_add_f64 v[31:32], v[29:30], -v[27:28]
	v_add_f64 v[35:36], v[19:20], v[29:30]
	v_add_f64 v[33:34], v[29:30], -v[31:32]
	v_add_f64 v[25:26], v[25:26], -v[31:32]
	v_ldexp_f64 v[31:32], v[35:36], -2
	v_add_f64 v[19:20], v[35:36], -v[19:20]
	v_add_f64 v[27:28], v[27:28], -v[33:34]
	v_add_f64 v[33:34], v[37:38], v[23:24]
	v_cmp_neq_f64_e64 vcc_lo, 0x7ff00000, |v[31:32]|
	v_add_f64 v[19:20], v[29:30], -v[19:20]
	v_add_f64 v[25:26], v[25:26], v[27:28]
	v_fract_f64_e32 v[27:28], v[31:32]
	v_add_f64 v[29:30], v[33:34], v[25:26]
	v_ldexp_f64 v[27:28], v[27:28], 2
	v_add_f64 v[31:32], v[19:20], v[29:30]
	v_cndmask_b32_e32 v28, 0, v28, vcc_lo
	v_cndmask_b32_e32 v27, 0, v27, vcc_lo
	v_add_f64 v[35:36], v[31:32], v[27:28]
	v_add_f64 v[19:20], v[31:32], -v[19:20]
	v_cmp_gt_f64_e32 vcc_lo, 0, v[35:36]
	v_add_f64 v[35:36], v[33:34], -v[37:38]
	v_add_f64 v[19:20], v[29:30], -v[19:20]
	v_cndmask_b32_e64 v40, 0, 0x40100000, vcc_lo
	v_add_f64 v[44:45], v[33:34], -v[35:36]
	v_add_f64 v[23:24], v[23:24], -v[35:36]
	v_add_f64 v[27:28], v[27:28], v[39:40]
	v_add_f64 v[40:41], v[29:30], -v[33:34]
	v_add_f64 v[35:36], v[37:38], -v[44:45]
	v_add_f64 v[42:43], v[31:32], v[27:28]
	;; [unrolled: 3-line block ×3, first 2 shown]
	v_cvt_i32_f64_e32 v9, v[42:43]
	v_add_f64 v[33:34], v[33:34], -v[46:47]
	v_cvt_f64_i32_e32 v[40:41], v9
	v_add_f64 v[25:26], v[25:26], v[33:34]
	v_add_f64 v[27:28], v[27:28], -v[40:41]
	v_add_f64 v[21:22], v[23:24], v[25:26]
	v_add_f64 v[23:24], v[31:32], v[27:28]
	;; [unrolled: 1-line block ×3, first 2 shown]
	v_add_f64 v[21:22], v[23:24], -v[27:28]
	v_cmp_le_f64_e32 vcc_lo, 0.5, v[23:24]
	v_add_f64 v[17:18], v[19:20], v[17:18]
	v_add_f64 v[19:20], v[31:32], -v[21:22]
	v_cndmask_b32_e64 v40, 0, 0x3ff00000, vcc_lo
	v_add_co_ci_u32_e64 v9, null, 0, v9, vcc_lo
	v_add_f64 v[17:18], v[17:18], v[19:20]
	v_add_f64 v[19:20], v[23:24], -v[39:40]
	v_add_f64 v[21:22], v[19:20], v[17:18]
	v_mul_f64 v[23:24], v[21:22], s[8:9]
	v_add_f64 v[19:20], v[21:22], -v[19:20]
	v_fma_f64 v[25:26], v[21:22], s[8:9], -v[23:24]
	v_add_f64 v[17:18], v[17:18], -v[19:20]
	v_fma_f64 v[19:20], v[21:22], s[10:11], v[25:26]
	v_fma_f64 v[19:20], v[17:18], s[8:9], v[19:20]
	v_add_f64 v[17:18], v[23:24], v[19:20]
	v_add_f64 v[21:22], v[17:18], -v[23:24]
	v_add_f64 v[19:20], v[19:20], -v[21:22]
	s_andn2_saveexec_b32 s0, s0
	s_cbranch_execnz .LBB7_86
	s_branch .LBB7_87
.LBB7_85:
	s_andn2_saveexec_b32 s0, s0
	s_cbranch_execz .LBB7_87
.LBB7_86:
	s_mov_b32 s8, 0x6dc9c883
	s_mov_b32 s9, 0x3fe45f30
	;; [unrolled: 1-line block ×3, first 2 shown]
	v_mul_f64 v[17:18], |v[6:7]|, s[8:9]
	s_mov_b32 s8, 0x54442d18
	s_mov_b32 s9, 0xbff921fb
	;; [unrolled: 1-line block ×3, first 2 shown]
	v_rndne_f64_e32 v[21:22], v[17:18]
	v_fma_f64 v[17:18], v[21:22], s[8:9], |v[6:7]|
	v_mul_f64 v[19:20], v[21:22], s[10:11]
	s_mov_b32 s8, 0x252049c0
	s_mov_b32 s9, 0xb97b839a
	v_cvt_i32_f64_e32 v9, v[21:22]
	v_fma_f64 v[25:26], v[21:22], s[10:11], v[17:18]
	v_add_f64 v[23:24], v[17:18], v[19:20]
	s_mov_b32 s11, 0x3c91a626
	v_add_f64 v[17:18], v[17:18], -v[23:24]
	v_add_f64 v[23:24], v[23:24], -v[25:26]
	v_add_f64 v[17:18], v[17:18], v[19:20]
	v_fma_f64 v[19:20], v[21:22], s[10:11], v[19:20]
	v_add_f64 v[17:18], v[23:24], v[17:18]
	v_add_f64 v[17:18], v[17:18], -v[19:20]
	v_fma_f64 v[19:20], v[21:22], s[8:9], v[17:18]
	v_add_f64 v[17:18], v[25:26], v[19:20]
	v_add_f64 v[23:24], v[17:18], -v[25:26]
	v_add_f64 v[19:20], v[19:20], -v[23:24]
.LBB7_87:
	s_or_b32 exec_lo, exec_lo, s0
	v_div_scale_f64 v[21:22], null, v[11:12], v[11:12], 0x40140000
	v_div_scale_f64 v[27:28], vcc_lo, 0x40140000, v[11:12], 0x40140000
	s_mov_b32 s0, 0x6b70ba40
	s_mov_b32 s1, 0x3faa27fa
	;; [unrolled: 1-line block ×8, first 2 shown]
	v_mul_f64 v[35:36], v[13:14], v[13:14]
	v_mul_f64 v[41:42], v[17:18], v[17:18]
	v_mul_f64 v[65:66], v[15:16], 0.5
	v_mul_f64 v[71:72], v[19:20], 0.5
	v_rcp_f64_e32 v[23:24], v[21:22]
	v_mul_f64 v[53:54], v[35:36], 0.5
	v_mul_f64 v[67:68], v[13:14], -v[35:36]
	v_fma_f64 v[25:26], -v[21:22], v[23:24], 1.0
	v_fma_f64 v[23:24], v[23:24], v[25:26], v[23:24]
	v_fma_f64 v[25:26], -v[21:22], v[23:24], 1.0
	v_fma_f64 v[23:24], v[23:24], v[25:26], v[23:24]
	v_mul_f64 v[25:26], v[27:28], v[23:24]
	v_fma_f64 v[21:22], -v[21:22], v[25:26], v[27:28]
	v_div_fmas_f64 v[21:22], v[21:22], v[23:24], v[25:26]
	v_div_fixup_f64 v[21:22], v[21:22], v[11:12], 0x40140000
	v_mul_f64 v[23:24], v[21:22], v[21:22]
	v_fma_f64 v[25:26], v[23:24], 0, s[0:1]
	s_mov_b32 s0, 0x4c6c651b
	s_mov_b32 s1, 0x3f48f92c
	v_fma_f64 v[27:28], v[23:24], 0, s[8:9]
	v_fma_f64 v[29:30], v[23:24], 0, s[0:1]
	v_fma_f64 v[31:32], v[23:24], 0, s[12:13]
	s_mov_b32 s0, 0xa3fec4b6
	s_mov_b32 s8, 0x5948aa83
	s_mov_b32 s1, 0x3fb2b948
	s_mov_b32 s9, 0x3fb19fdd
	s_mov_b32 s12, 0xa20e5f6f
	s_mov_b32 s13, 0x409081cb
	v_fma_f64 v[25:26], v[23:24], v[25:26], s[10:11]
	s_mov_b32 s10, 0x9acf1c67
	s_mov_b32 s11, 0x4052f4b9
	v_fma_f64 v[27:28], v[23:24], v[27:28], s[8:9]
	v_fma_f64 v[29:30], v[23:24], v[29:30], s[0:1]
	v_fma_f64 v[31:32], v[23:24], v[31:32], s[12:13]
	s_mov_b32 s0, 0xc21596d6
	s_mov_b32 s8, 0xb850eed6
	s_mov_b32 s1, 0x3ff208fe
	s_mov_b32 s9, 0x3ff1aea9
	s_mov_b32 s12, 0x1bfdfe81
	s_mov_b32 s13, 0x40b37a69
	;; [unrolled: 12-line block ×5, first 2 shown]
	v_fma_f64 v[25:26], v[23:24], v[25:26], s[10:11]
	s_mov_b32 s10, 0x4c54bb0b
	s_mov_b32 s11, 0x406a760a
	v_fma_f64 v[27:28], v[23:24], v[27:28], s[8:9]
	v_fma_f64 v[29:30], v[23:24], v[29:30], s[0:1]
	;; [unrolled: 1-line block ×3, first 2 shown]
	s_mov_b32 s0, 0x4d159eb5
	s_mov_b32 s8, 0x6ae75997
	;; [unrolled: 1-line block ×4, first 2 shown]
	v_fma_f64 v[25:26], v[23:24], v[25:26], s[10:11]
	s_mov_b32 s10, 0x46cc5e42
	s_mov_b32 s11, 0xbda907db
	v_fma_f64 v[27:28], v[23:24], v[27:28], 1.0
	v_fma_f64 v[29:30], v[23:24], v[29:30], 1.0
	v_fma_f64 v[31:32], v[23:24], v[31:32], s[8:9]
	s_mov_b32 s8, 0xf9a43bb8
	s_mov_b32 s9, 0x3de5e0b2
	v_fma_f64 v[23:24], v[23:24], v[25:26], s[0:1]
	s_mov_b32 s0, 0xb42fdfa7
	s_mov_b32 s1, 0xbe5ae600
	v_div_scale_f64 v[25:26], null, v[27:28], v[27:28], v[29:30]
	v_fma_f64 v[43:44], v[35:36], s[8:9], s[0:1]
	v_fma_f64 v[49:50], v[41:42], s[8:9], s[0:1]
	s_mov_b32 s0, 0x796cde01
	s_mov_b32 s1, 0x3ec71de3
	;; [unrolled: 1-line block ×4, first 2 shown]
	v_div_scale_f64 v[73:74], vcc_lo, v[29:30], v[27:28], v[29:30]
	v_fma_f64 v[51:52], v[35:36], s[10:11], s[8:9]
	v_div_scale_f64 v[33:34], null, v[31:32], v[31:32], v[23:24]
	v_rcp_f64_e32 v[37:38], v[25:26]
	v_fma_f64 v[43:44], v[35:36], v[43:44], s[0:1]
	v_rcp_f64_e32 v[39:40], v[33:34]
	v_fma_f64 v[45:46], -v[25:26], v[37:38], 1.0
	v_fma_f64 v[47:48], -v[33:34], v[39:40], 1.0
	v_fma_f64 v[37:38], v[37:38], v[45:46], v[37:38]
	v_fma_f64 v[45:46], v[41:42], v[49:50], s[0:1]
	v_cmp_gt_f64_e64 s0, 0x10000000, v[11:12]
	v_mul_f64 v[49:50], v[41:42], 0.5
	v_fma_f64 v[39:40], v[39:40], v[47:48], v[39:40]
	v_fma_f64 v[47:48], v[41:42], s[10:11], s[8:9]
	s_mov_b32 s10, 0x19e83e5c
	s_mov_b32 s11, 0xbf2a01a0
	v_fma_f64 v[57:58], -v[25:26], v[37:38], 1.0
	v_fma_f64 v[43:44], v[35:36], v[43:44], s[10:11]
	v_cndmask_b32_e64 v55, 0, 0x100, s0
	s_mov_b32 s8, 0xa17f65f6
	s_mov_b32 s9, 0xbe927e4f
	v_fma_f64 v[45:46], v[41:42], v[45:46], s[10:11]
	v_fma_f64 v[51:52], v[35:36], v[51:52], s[8:9]
	v_ldexp_f64 v[11:12], v[11:12], v55
	v_add_f64 v[55:56], -v[53:54], 1.0
	v_add_f64 v[61:62], -v[49:50], 1.0
	s_mov_b32 s10, 0x19f4ec90
	s_mov_b32 s11, 0x3efa01a0
	v_fma_f64 v[59:60], -v[33:34], v[39:40], 1.0
	v_fma_f64 v[47:48], v[41:42], v[47:48], s[8:9]
	s_mov_b32 s8, 0x11110bb3
	s_mov_b32 s9, 0x3f811111
	v_fma_f64 v[37:38], v[37:38], v[57:58], v[37:38]
	v_fma_f64 v[43:44], v[35:36], v[43:44], s[8:9]
	v_div_scale_f64 v[57:58], s1, v[23:24], v[31:32], v[23:24]
	v_fma_f64 v[45:46], v[41:42], v[45:46], s[8:9]
	v_fma_f64 v[51:52], v[35:36], v[51:52], s[10:11]
	v_rsq_f64_e32 v[63:64], v[11:12]
	v_add_f64 v[69:70], -v[55:56], 1.0
	v_add_f64 v[75:76], -v[61:62], 1.0
	s_mov_b32 s8, 0x16c16967
	s_mov_b32 s9, 0xbf56c16c
	v_fma_f64 v[39:40], v[39:40], v[59:60], v[39:40]
	v_mul_f64 v[59:60], v[17:18], -v[41:42]
	v_fma_f64 v[47:48], v[41:42], v[47:48], s[10:11]
	v_fma_f64 v[43:44], v[67:68], v[43:44], v[65:66]
	v_mul_f64 v[65:66], v[73:74], v[37:38]
	v_fma_f64 v[51:52], v[35:36], v[51:52], s[8:9]
	v_add_f64 v[53:54], v[69:70], -v[53:54]
	v_mul_f64 v[77:78], v[11:12], v[63:64]
	v_mul_f64 v[63:64], v[63:64], 0.5
	v_add_f64 v[49:50], v[75:76], -v[49:50]
	v_mul_f64 v[69:70], v[57:58], v[39:40]
	v_fma_f64 v[45:46], v[59:60], v[45:46], v[71:72]
	v_fma_f64 v[47:48], v[41:42], v[47:48], s[8:9]
	s_mov_b32 s8, 0x55555555
	s_mov_b32 s9, 0x3fa55555
	v_mul_f64 v[71:72], v[35:36], v[35:36]
	v_fma_f64 v[25:26], -v[25:26], v[65:66], v[73:74]
	v_fma_f64 v[51:52], v[35:36], v[51:52], s[8:9]
	v_fma_f64 v[53:54], v[13:14], -v[15:16], v[53:54]
	v_fma_f64 v[15:16], v[35:36], v[43:44], -v[15:16]
	v_fma_f64 v[75:76], -v[63:64], v[77:78], 0.5
	v_mul_f64 v[43:44], v[41:42], v[41:42]
	v_fma_f64 v[33:34], -v[33:34], v[69:70], v[57:58]
	v_fma_f64 v[35:36], v[41:42], v[45:46], -v[19:20]
	v_fma_f64 v[41:42], v[41:42], v[47:48], s[8:9]
	v_fma_f64 v[19:20], v[17:18], -v[19:20], v[49:50]
	s_mov_b32 s9, 0xbfc55555
	v_div_fmas_f64 v[25:26], v[25:26], v[37:38], v[65:66]
	s_mov_b32 vcc_lo, s1
	v_cmp_class_f64_e64 s1, v[6:7], 0x1f8
	v_and_b32_e32 v6, 1, v9
	v_lshlrev_b32_e32 v9, 30, v9
	v_fma_f64 v[47:48], v[71:72], v[51:52], v[53:54]
	v_fma_f64 v[15:16], v[67:68], s[8:9], v[15:16]
	;; [unrolled: 1-line block ×4, first 2 shown]
	v_cmp_eq_u32_e64 s2, 0, v6
	v_and_b32_e32 v9, 0x80000000, v9
	v_div_fmas_f64 v[33:34], v[33:34], v[39:40], v[69:70]
	v_fma_f64 v[35:36], v[59:60], s[8:9], v[35:36]
	v_fma_f64 v[19:20], v[43:44], v[41:42], v[19:20]
	v_add_f64 v[41:42], v[55:56], v[47:48]
	v_add_f64 v[13:14], v[13:14], -v[15:16]
	v_fma_f64 v[39:40], -v[45:46], v[45:46], v[11:12]
	v_div_fixup_f64 v[15:16], v[33:34], v[31:32], v[23:24]
	v_add_f64 v[17:18], v[17:18], -v[35:36]
	v_and_b32_e32 v31, 1, v4
	v_add_f64 v[19:20], v[61:62], v[19:20]
	v_lshlrev_b32_e32 v4, 30, v4
	v_cmp_eq_u32_e32 vcc_lo, 0, v31
	v_xor_b32_e32 v4, v4, v7
	v_cndmask_b32_e32 v7, v42, v14, vcc_lo
	v_fma_f64 v[23:24], v[39:40], v[37:38], v[45:46]
	v_and_b32_e32 v4, 0x80000000, v4
	v_cndmask_b32_e32 v13, v41, v13, vcc_lo
	v_cmp_class_f64_e64 vcc_lo, v[11:12], 0x260
	v_xor_b32_e32 v4, v7, v4
	v_mul_f64 v[15:16], v[21:22], v[15:16]
	v_xor_b32_e32 v6, 0x80000000, v18
	v_div_fixup_f64 v[21:22], v[25:26], v[27:28], v[29:30]
	v_cndmask_b32_e64 v19, v17, v19, s2
	v_cndmask_b32_e64 v7, 0x7ff80000, v4, s1
	;; [unrolled: 1-line block ×5, first 2 shown]
	v_xor_b32_e32 v9, v6, v9
	v_cndmask_b32_e64 v6, 0, v13, s1
	v_fma_f64 v[17:18], -v[23:24], v[23:24], v[11:12]
	v_cndmask_b32_e64 v20, 0x7ff80000, v9, s1
	s_mov_b32 s0, 0x33d43651
	s_mov_b32 s1, 0x3fe98845
	v_mul_f64 v[15:16], v[15:16], v[19:20]
	v_fma_f64 v[13:14], v[17:18], v[37:38], v[23:24]
	v_fma_f64 v[6:7], v[21:22], v[6:7], v[15:16]
	v_ldexp_f64 v[13:14], v[13:14], v4
	v_mul_f64 v[6:7], v[6:7], s[0:1]
	v_cndmask_b32_e32 v12, v14, v12, vcc_lo
	v_cndmask_b32_e32 v11, v13, v11, vcc_lo
	v_div_scale_f64 v[13:14], null, v[11:12], v[11:12], v[6:7]
	v_rcp_f64_e32 v[15:16], v[13:14]
	v_fma_f64 v[17:18], -v[13:14], v[15:16], 1.0
	v_fma_f64 v[15:16], v[15:16], v[17:18], v[15:16]
	v_fma_f64 v[17:18], -v[13:14], v[15:16], 1.0
	v_fma_f64 v[15:16], v[15:16], v[17:18], v[15:16]
	v_div_scale_f64 v[17:18], vcc_lo, v[6:7], v[11:12], v[6:7]
	v_mul_f64 v[19:20], v[17:18], v[15:16]
	v_fma_f64 v[13:14], -v[13:14], v[19:20], v[17:18]
	v_div_fmas_f64 v[13:14], v[13:14], v[15:16], v[19:20]
	v_div_fixup_f64 v[6:7], v[13:14], v[11:12], v[6:7]
.LBB7_88:
	s_or_b32 exec_lo, exec_lo, s3
	global_load_dwordx2 v[11:12], v10, s[6:7]
                                        ; implicit-def: $vgpr9_vgpr10
	s_mov_b32 s0, exec_lo
	s_waitcnt vmcnt(0)
	v_cmpx_ge_f64_e32 0x40140000, v[11:12]
	s_xor_b32 s2, exec_lo, s0
	s_cbranch_execz .LBB7_94
; %bb.89:
	v_mov_b32_e32 v9, 0
	v_mov_b32_e32 v10, 0xfff00000
	s_mov_b32 s3, exec_lo
	v_cmpx_neq_f64_e32 0, v[11:12]
	s_cbranch_execz .LBB7_93
; %bb.90:
	v_mov_b32_e32 v9, 0
	v_mov_b32_e32 v10, 0x7ff80000
	s_mov_b32 s8, exec_lo
	v_cmpx_nge_f64_e32 0, v[11:12]
	s_cbranch_execz .LBB7_92
; %bb.91:
	v_frexp_mant_f64_e32 v[9:10], v[11:12]
	s_mov_b32 s1, 0x3fe55555
	s_mov_b32 s0, 0x55555555
	;; [unrolled: 1-line block ×10, first 2 shown]
	v_cmp_gt_f64_e32 vcc_lo, s[0:1], v[9:10]
	s_mov_b32 s0, 0x55555780
	v_cndmask_b32_e64 v4, 0, 1, vcc_lo
	v_ldexp_f64 v[9:10], v[9:10], v4
	v_frexp_exp_i32_f64_e32 v4, v[11:12]
	v_add_f64 v[13:14], v[9:10], 1.0
	v_add_f64 v[19:20], v[9:10], -1.0
	v_subrev_co_ci_u32_e64 v4, null, 0, v4, vcc_lo
	v_rcp_f64_e32 v[15:16], v[13:14]
	v_add_f64 v[21:22], v[13:14], -1.0
	v_add_f64 v[9:10], v[9:10], -v[21:22]
	v_fma_f64 v[17:18], -v[13:14], v[15:16], 1.0
	v_fma_f64 v[15:16], v[17:18], v[15:16], v[15:16]
	v_fma_f64 v[17:18], -v[13:14], v[15:16], 1.0
	v_fma_f64 v[15:16], v[17:18], v[15:16], v[15:16]
	v_mul_f64 v[17:18], v[19:20], v[15:16]
	v_mul_f64 v[23:24], v[13:14], v[17:18]
	v_fma_f64 v[13:14], v[17:18], v[13:14], -v[23:24]
	v_fma_f64 v[9:10], v[17:18], v[9:10], v[13:14]
	v_add_f64 v[13:14], v[23:24], v[9:10]
	v_add_f64 v[21:22], v[19:20], -v[13:14]
	v_add_f64 v[23:24], v[13:14], -v[23:24]
	;; [unrolled: 1-line block ×5, first 2 shown]
	v_add_f64 v[9:10], v[9:10], v[13:14]
	v_add_f64 v[9:10], v[21:22], v[9:10]
	v_mul_f64 v[21:22], v[11:12], v[11:12]
	v_mul_f64 v[9:10], v[15:16], v[9:10]
	v_add_f64 v[13:14], v[17:18], v[9:10]
	v_mul_f64 v[15:16], v[13:14], v[13:14]
	v_ldexp_f64 v[31:32], v[13:14], 1
	v_fma_f64 v[19:20], v[15:16], s[12:13], s[10:11]
	s_mov_b32 s10, 0xd7f4df2e
	s_mov_b32 s11, 0x3fc7474d
	;; [unrolled: 1-line block ×4, first 2 shown]
	v_mul_f64 v[29:30], v[13:14], v[15:16]
	v_fma_f64 v[25:26], v[21:22], 0, s[12:13]
	s_mov_b32 s12, 0xdd701b2
	s_mov_b32 s13, 0x410f5eda
	v_add_f64 v[13:14], v[13:14], -v[17:18]
	v_fma_f64 v[19:20], v[15:16], v[19:20], s[10:11]
	s_mov_b32 s10, 0xa93f7ac2
	s_mov_b32 s11, 0x40829269
	v_fma_f64 v[23:24], v[21:22], 0, s[10:11]
	s_mov_b32 s10, 0x16291751
	s_mov_b32 s11, 0x3fcc71c0
	;; [unrolled: 3-line block ×3, first 2 shown]
	v_add_f64 v[9:10], v[9:10], -v[13:14]
	v_fma_f64 v[19:20], v[15:16], v[19:20], s[10:11]
	s_mov_b32 s10, 0xbe58ef7f
	s_mov_b32 s11, 0x410cc160
	v_fma_f64 v[23:24], v[21:22], v[23:24], s[10:11]
	s_mov_b32 s10, 0x9b27acf1
	s_mov_b32 s11, 0x3fd24924
	;; [unrolled: 3-line block ×3, first 2 shown]
	v_ldexp_f64 v[9:10], v[9:10], 1
	v_fma_f64 v[19:20], v[15:16], v[19:20], s[10:11]
	s_mov_b32 s10, 0x62f9b6c5
	s_mov_b32 s11, 0x41d2d2be
	v_fma_f64 v[27:28], v[21:22], 0, s[10:11]
	v_fma_f64 v[23:24], v[21:22], v[23:24], s[12:13]
	s_mov_b32 s10, 0x998ef7b6
	s_mov_b32 s11, 0x3fd99999
	;; [unrolled: 1-line block ×4, first 2 shown]
	v_fma_f64 v[25:26], v[21:22], v[25:26], s[14:15]
	s_mov_b32 s14, 0x8076ffa8
	s_mov_b32 s15, 0x429146fb
	v_fma_f64 v[19:20], v[15:16], v[19:20], s[10:11]
	s_mov_b32 s10, 0x58836521
	s_mov_b32 s11, 0xc262d72d
	v_fma_f64 v[27:28], v[21:22], v[27:28], s[10:11]
	v_fma_f64 v[23:24], v[21:22], v[23:24], s[12:13]
	s_mov_b32 s10, 0xfda99316
	s_mov_b32 s12, 0x4cda4fc5
	;; [unrolled: 1-line block ×4, first 2 shown]
	v_fma_f64 v[25:26], v[21:22], v[25:26], s[14:15]
	s_mov_b32 s14, 0x3eccf45f
	s_mov_b32 s15, 0x43064b0a
	v_fma_f64 v[15:16], v[15:16], v[19:20], s[0:1]
	s_mov_b32 s0, 0xb0910fef
	s_mov_b32 s1, 0x42da0954
	v_fma_f64 v[19:20], v[21:22], v[27:28], s[0:1]
	v_fma_f64 v[23:24], v[21:22], v[23:24], s[10:11]
	;; [unrolled: 1-line block ×3, first 2 shown]
	s_mov_b32 s0, 0x37a1b083
	s_mov_b32 s10, 0xd71d1e4e
	;; [unrolled: 1-line block ×6, first 2 shown]
	v_fma_f64 v[25:26], v[21:22], v[25:26], s[14:15]
	s_mov_b32 s14, 0xf4653f81
	s_mov_b32 s15, 0x4373e0bf
	v_mul_f64 v[15:16], v[29:30], v[15:16]
	v_cvt_f64_i32_e32 v[29:30], v4
	v_fma_f64 v[19:20], v[21:22], v[19:20], s[0:1]
	v_fma_f64 v[23:24], v[21:22], v[23:24], s[10:11]
	;; [unrolled: 1-line block ×3, first 2 shown]
	s_mov_b32 s0, 0xb7366b1
	s_mov_b32 s10, 0xc547a488
	;; [unrolled: 1-line block ×6, first 2 shown]
	v_fma_f64 v[25:26], v[21:22], v[25:26], s[14:15]
	s_mov_b32 s14, 0xa697c482
	s_mov_b32 s15, 0x432a2b42
	v_add_f64 v[17:18], v[31:32], v[15:16]
	v_mul_f64 v[33:34], v[29:30], s[16:17]
	v_fma_f64 v[19:20], v[21:22], v[19:20], s[0:1]
	v_fma_f64 v[23:24], v[21:22], v[23:24], s[10:11]
	;; [unrolled: 1-line block ×3, first 2 shown]
	s_mov_b32 s0, 0x90f6747f
	s_mov_b32 s10, 0x5dde2b17
	;; [unrolled: 1-line block ×6, first 2 shown]
	v_add_f64 v[13:14], v[17:18], -v[31:32]
	v_fma_f64 v[19:20], v[21:22], v[19:20], s[10:11]
	v_fma_f64 v[23:24], v[21:22], v[23:24], s[0:1]
	v_fma_f64 v[27:28], v[21:22], v[27:28], s[14:15]
	v_fma_f64 v[21:22], v[21:22], v[25:26], s[12:13]
	v_fma_f64 v[25:26], v[29:30], s[16:17], -v[33:34]
	s_mov_b32 s0, 0x3b39803f
	s_mov_b32 s1, 0x3c7abc9e
	v_add_f64 v[13:14], v[15:16], -v[13:14]
	v_div_scale_f64 v[15:16], null, v[23:24], v[23:24], v[19:20]
	v_div_scale_f64 v[31:32], null, v[21:22], v[21:22], v[27:28]
	v_fma_f64 v[25:26], v[29:30], s[0:1], v[25:26]
	v_add_f64 v[9:10], v[9:10], v[13:14]
	v_rcp_f64_e32 v[13:14], v[15:16]
	v_rcp_f64_e32 v[29:30], v[31:32]
	v_add_f64 v[35:36], v[33:34], v[25:26]
	v_add_f64 v[37:38], v[17:18], v[9:10]
	v_fma_f64 v[39:40], -v[15:16], v[13:14], 1.0
	v_fma_f64 v[41:42], -v[31:32], v[29:30], 1.0
	v_add_f64 v[33:34], v[35:36], -v[33:34]
	v_add_f64 v[43:44], v[35:36], v[37:38]
	v_add_f64 v[17:18], v[37:38], -v[17:18]
	v_fma_f64 v[13:14], v[13:14], v[39:40], v[13:14]
	v_fma_f64 v[29:30], v[29:30], v[41:42], v[29:30]
	v_div_scale_f64 v[41:42], null, v[11:12], v[11:12], -1.0
	v_add_f64 v[25:26], v[25:26], -v[33:34]
	v_div_scale_f64 v[33:34], vcc_lo, v[19:20], v[23:24], v[19:20]
	v_add_f64 v[39:40], v[43:44], -v[35:36]
	v_add_f64 v[9:10], v[9:10], -v[17:18]
	v_fma_f64 v[45:46], -v[15:16], v[13:14], 1.0
	v_fma_f64 v[47:48], -v[31:32], v[29:30], 1.0
	v_rcp_f64_e32 v[51:52], v[41:42]
	v_add_f64 v[49:50], v[43:44], -v[39:40]
	v_add_f64 v[17:18], v[37:38], -v[39:40]
	v_fma_f64 v[13:14], v[13:14], v[45:46], v[13:14]
	v_div_scale_f64 v[45:46], s0, v[27:28], v[21:22], v[27:28]
	v_fma_f64 v[29:30], v[29:30], v[47:48], v[29:30]
	v_fma_f64 v[37:38], -v[41:42], v[51:52], 1.0
	v_add_f64 v[35:36], v[35:36], -v[49:50]
	v_add_f64 v[49:50], v[25:26], v[9:10]
	v_mul_f64 v[39:40], v[33:34], v[13:14]
	v_mul_f64 v[47:48], v[45:46], v[29:30]
	v_add_f64 v[17:18], v[17:18], v[35:36]
	v_fma_f64 v[35:36], v[51:52], v[37:38], v[51:52]
	v_fma_f64 v[15:16], -v[15:16], v[39:40], v[33:34]
	v_add_f64 v[33:34], v[49:50], -v[25:26]
	v_fma_f64 v[31:32], -v[31:32], v[47:48], v[45:46]
	v_add_f64 v[17:18], v[49:50], v[17:18]
	v_fma_f64 v[37:38], -v[41:42], v[35:36], 1.0
	v_div_fmas_f64 v[13:14], v[15:16], v[13:14], v[39:40]
	s_mov_b32 vcc_lo, s0
	v_add_f64 v[9:10], v[9:10], -v[33:34]
	v_div_fmas_f64 v[15:16], v[31:32], v[29:30], v[47:48]
	v_add_f64 v[29:30], v[49:50], -v[33:34]
	v_div_scale_f64 v[39:40], vcc_lo, -1.0, v[11:12], -1.0
	s_mov_b32 s0, 0x4189822c
	s_mov_b32 s1, 0xc02d5d2b
	v_add_f64 v[31:32], v[43:44], v[17:18]
	v_fma_f64 v[35:36], v[35:36], v[37:38], v[35:36]
	v_div_fixup_f64 v[13:14], v[13:14], v[23:24], v[19:20]
	v_div_fixup_f64 v[15:16], v[15:16], v[21:22], v[27:28]
	v_add_f64 v[21:22], v[25:26], -v[29:30]
	v_fma_f64 v[29:30], v[11:12], v[11:12], s[0:1]
	s_mov_b32 s0, 0x6072a432
	s_mov_b32 s1, 0xc0489bf6
	v_add_f64 v[25:26], v[31:32], -v[43:44]
	v_mul_f64 v[27:28], v[39:40], v[35:36]
	v_mul_f64 v[15:16], v[11:12], v[15:16]
	v_add_f64 v[9:10], v[9:10], v[21:22]
	v_add_f64 v[17:18], v[17:18], -v[25:26]
	v_fma_f64 v[21:22], -v[41:42], v[27:28], v[39:40]
	v_fma_f64 v[25:26], v[11:12], v[11:12], s[0:1]
	s_mov_b32 s0, 0x6dc9c883
	s_mov_b32 s1, 0x3fe45f30
	v_mul_f64 v[15:16], v[29:30], v[15:16]
	v_add_f64 v[9:10], v[9:10], v[17:18]
	v_div_fmas_f64 v[17:18], v[21:22], v[35:36], v[27:28]
	v_mul_f64 v[15:16], v[25:26], v[15:16]
	v_add_f64 v[9:10], v[31:32], v[9:10]
	v_div_fixup_f64 v[17:18], v[17:18], v[11:12], -1.0
	v_fma_f64 v[9:10], v[15:16], v[9:10], v[17:18]
	v_mul_f64 v[9:10], v[9:10], s[0:1]
	v_fma_f64 v[9:10], v[11:12], v[13:14], v[9:10]
.LBB7_92:
	s_or_b32 exec_lo, exec_lo, s8
.LBB7_93:
	s_or_b32 exec_lo, exec_lo, s3
                                        ; implicit-def: $vgpr11_vgpr12
.LBB7_94:
	s_andn2_saveexec_b32 s12, s2
	s_cbranch_execz .LBB7_104
; %bb.95:
	s_mov_b32 s0, 0x7f3321d2
	s_mov_b32 s1, 0xc002d97c
                                        ; implicit-def: $vgpr4
                                        ; implicit-def: $vgpr13_vgpr14
                                        ; implicit-def: $vgpr15_vgpr16
	v_add_f64 v[9:10], v[11:12], s[0:1]
	v_cmp_ngt_f64_e64 s0, 0x41d00000, |v[9:10]|
	v_trig_preop_f64 v[25:26], |v[9:10]|, 0
	v_trig_preop_f64 v[23:24], |v[9:10]|, 1
	v_ldexp_f64 v[27:28], |v[9:10]|, 0xffffff80
	v_trig_preop_f64 v[19:20], |v[9:10]|, 2
	v_and_b32_e32 v30, 0x7fffffff, v10
	s_and_saveexec_b32 s1, s0
	s_xor_b32 s1, exec_lo, s1
	s_cbranch_execz .LBB7_97
; %bb.96:
	v_cmp_le_f64_e64 vcc_lo, 0x7b000000, |v[9:10]|
	v_mov_b32_e32 v43, 0
	s_mov_b32 s2, 0x54442d18
	s_mov_b32 s3, 0x3ff921fb
	s_mov_b32 s8, 0x33145c07
	s_mov_b32 s9, 0x3c91a626
	v_cndmask_b32_e32 v14, v30, v28, vcc_lo
	v_cndmask_b32_e32 v13, v9, v27, vcc_lo
	v_mul_f64 v[15:16], v[25:26], v[13:14]
	v_mul_f64 v[17:18], v[23:24], v[13:14]
	;; [unrolled: 1-line block ×3, first 2 shown]
	v_fma_f64 v[21:22], v[25:26], v[13:14], -v[15:16]
	v_fma_f64 v[41:42], v[23:24], v[13:14], -v[17:18]
	;; [unrolled: 1-line block ×3, first 2 shown]
	v_add_f64 v[31:32], v[17:18], v[21:22]
	v_add_f64 v[33:34], v[31:32], -v[17:18]
	v_add_f64 v[37:38], v[15:16], v[31:32]
	v_add_f64 v[35:36], v[31:32], -v[33:34]
	v_add_f64 v[21:22], v[21:22], -v[33:34]
	v_ldexp_f64 v[33:34], v[37:38], -2
	v_add_f64 v[15:16], v[37:38], -v[15:16]
	v_add_f64 v[17:18], v[17:18], -v[35:36]
	v_add_f64 v[35:36], v[39:40], v[41:42]
	v_cmp_neq_f64_e64 vcc_lo, 0x7ff00000, |v[33:34]|
	v_add_f64 v[15:16], v[31:32], -v[15:16]
	v_add_f64 v[17:18], v[21:22], v[17:18]
	v_fract_f64_e32 v[21:22], v[33:34]
	v_add_f64 v[31:32], v[35:36], v[17:18]
	v_ldexp_f64 v[21:22], v[21:22], 2
	v_add_f64 v[33:34], v[15:16], v[31:32]
	v_cndmask_b32_e32 v22, 0, v22, vcc_lo
	v_cndmask_b32_e32 v21, 0, v21, vcc_lo
	v_add_f64 v[37:38], v[33:34], v[21:22]
	v_add_f64 v[15:16], v[33:34], -v[15:16]
	v_cmp_gt_f64_e32 vcc_lo, 0, v[37:38]
	v_add_f64 v[37:38], v[35:36], -v[39:40]
	v_add_f64 v[15:16], v[31:32], -v[15:16]
	v_cndmask_b32_e64 v44, 0, 0x40100000, vcc_lo
	v_add_f64 v[48:49], v[35:36], -v[37:38]
	v_add_f64 v[37:38], v[41:42], -v[37:38]
	v_add_f64 v[21:22], v[21:22], v[43:44]
	v_add_f64 v[44:45], v[31:32], -v[35:36]
	v_add_f64 v[41:42], v[39:40], -v[48:49]
	v_add_f64 v[46:47], v[33:34], v[21:22]
	;; [unrolled: 3-line block ×3, first 2 shown]
	v_cvt_i32_f64_e32 v4, v[46:47]
	v_add_f64 v[35:36], v[35:36], -v[50:51]
	v_cvt_f64_i32_e32 v[44:45], v4
	v_add_f64 v[17:18], v[17:18], v[35:36]
	v_add_f64 v[21:22], v[21:22], -v[44:45]
	v_add_f64 v[17:18], v[37:38], v[17:18]
	v_add_f64 v[35:36], v[33:34], v[21:22]
	;; [unrolled: 1-line block ×3, first 2 shown]
	v_add_f64 v[17:18], v[35:36], -v[21:22]
	v_cmp_le_f64_e32 vcc_lo, 0.5, v[35:36]
	v_add_f64 v[13:14], v[15:16], v[13:14]
	v_add_f64 v[15:16], v[33:34], -v[17:18]
	v_cndmask_b32_e64 v44, 0, 0x3ff00000, vcc_lo
	v_add_co_ci_u32_e64 v4, null, 0, v4, vcc_lo
	v_add_f64 v[13:14], v[13:14], v[15:16]
	v_add_f64 v[15:16], v[35:36], -v[43:44]
	v_add_f64 v[17:18], v[15:16], v[13:14]
	v_mul_f64 v[21:22], v[17:18], s[2:3]
	v_add_f64 v[15:16], v[17:18], -v[15:16]
	v_fma_f64 v[31:32], v[17:18], s[2:3], -v[21:22]
	v_add_f64 v[13:14], v[13:14], -v[15:16]
	v_fma_f64 v[15:16], v[17:18], s[8:9], v[31:32]
	v_fma_f64 v[15:16], v[13:14], s[2:3], v[15:16]
	v_add_f64 v[13:14], v[21:22], v[15:16]
	v_add_f64 v[17:18], v[13:14], -v[21:22]
	v_add_f64 v[15:16], v[15:16], -v[17:18]
	s_andn2_saveexec_b32 s1, s1
	s_cbranch_execz .LBB7_99
	s_branch .LBB7_98
.LBB7_97:
	s_andn2_saveexec_b32 s1, s1
	s_cbranch_execz .LBB7_99
.LBB7_98:
	s_mov_b32 s2, 0x6dc9c883
	s_mov_b32 s3, 0x3fe45f30
	s_mov_b32 s9, 0xbc91a626
	v_mul_f64 v[13:14], |v[9:10]|, s[2:3]
	s_mov_b32 s2, 0x54442d18
	s_mov_b32 s3, 0xbff921fb
	;; [unrolled: 1-line block ×3, first 2 shown]
	v_rndne_f64_e32 v[17:18], v[13:14]
	v_fma_f64 v[13:14], v[17:18], s[2:3], |v[9:10]|
	v_mul_f64 v[15:16], v[17:18], s[8:9]
	s_mov_b32 s2, 0x252049c0
	s_mov_b32 s3, 0xb97b839a
	v_cvt_i32_f64_e32 v4, v[17:18]
	v_fma_f64 v[31:32], v[17:18], s[8:9], v[13:14]
	v_add_f64 v[21:22], v[13:14], v[15:16]
	s_mov_b32 s9, 0x3c91a626
	v_add_f64 v[13:14], v[13:14], -v[21:22]
	v_add_f64 v[21:22], v[21:22], -v[31:32]
	v_add_f64 v[13:14], v[13:14], v[15:16]
	v_fma_f64 v[15:16], v[17:18], s[8:9], v[15:16]
	v_add_f64 v[13:14], v[21:22], v[13:14]
	v_add_f64 v[13:14], v[13:14], -v[15:16]
	v_fma_f64 v[15:16], v[17:18], s[2:3], v[13:14]
	v_add_f64 v[13:14], v[31:32], v[15:16]
	v_add_f64 v[21:22], v[13:14], -v[31:32]
	v_add_f64 v[15:16], v[15:16], -v[21:22]
.LBB7_99:
	s_or_b32 exec_lo, exec_lo, s1
                                        ; implicit-def: $vgpr29
                                        ; implicit-def: $vgpr17_vgpr18
                                        ; implicit-def: $vgpr21_vgpr22
	s_and_saveexec_b32 s1, s0
	s_xor_b32 s0, exec_lo, s1
	s_cbranch_execz .LBB7_101
; %bb.100:
	v_cmp_le_f64_e64 vcc_lo, 0x7b000000, |v[9:10]|
	v_mov_b32_e32 v39, 0
	s_mov_b32 s2, 0x54442d18
	s_mov_b32 s3, 0x3ff921fb
	;; [unrolled: 1-line block ×4, first 2 shown]
	v_cndmask_b32_e32 v18, v30, v28, vcc_lo
	v_cndmask_b32_e32 v17, v9, v27, vcc_lo
	v_mul_f64 v[21:22], v[25:26], v[17:18]
	v_mul_f64 v[27:28], v[23:24], v[17:18]
	;; [unrolled: 1-line block ×3, first 2 shown]
	v_fma_f64 v[25:26], v[25:26], v[17:18], -v[21:22]
	v_fma_f64 v[23:24], v[23:24], v[17:18], -v[27:28]
	;; [unrolled: 1-line block ×3, first 2 shown]
	v_add_f64 v[29:30], v[27:28], v[25:26]
	v_add_f64 v[31:32], v[29:30], -v[27:28]
	v_add_f64 v[35:36], v[21:22], v[29:30]
	v_add_f64 v[33:34], v[29:30], -v[31:32]
	v_add_f64 v[25:26], v[25:26], -v[31:32]
	v_ldexp_f64 v[31:32], v[35:36], -2
	v_add_f64 v[21:22], v[35:36], -v[21:22]
	v_add_f64 v[27:28], v[27:28], -v[33:34]
	v_add_f64 v[33:34], v[37:38], v[23:24]
	v_cmp_neq_f64_e64 vcc_lo, 0x7ff00000, |v[31:32]|
	v_add_f64 v[21:22], v[29:30], -v[21:22]
	v_add_f64 v[25:26], v[25:26], v[27:28]
	v_fract_f64_e32 v[27:28], v[31:32]
	v_add_f64 v[29:30], v[33:34], v[25:26]
	v_ldexp_f64 v[27:28], v[27:28], 2
	v_add_f64 v[31:32], v[21:22], v[29:30]
	v_cndmask_b32_e32 v28, 0, v28, vcc_lo
	v_cndmask_b32_e32 v27, 0, v27, vcc_lo
	v_add_f64 v[35:36], v[31:32], v[27:28]
	v_add_f64 v[19:20], v[31:32], -v[21:22]
	v_cmp_gt_f64_e32 vcc_lo, 0, v[35:36]
	v_add_f64 v[35:36], v[33:34], -v[37:38]
	v_add_f64 v[19:20], v[29:30], -v[19:20]
	v_cndmask_b32_e64 v40, 0, 0x40100000, vcc_lo
	v_add_f64 v[44:45], v[33:34], -v[35:36]
	v_add_f64 v[23:24], v[23:24], -v[35:36]
	v_add_f64 v[27:28], v[27:28], v[39:40]
	v_add_f64 v[40:41], v[29:30], -v[33:34]
	v_add_f64 v[35:36], v[37:38], -v[44:45]
	v_add_f64 v[42:43], v[31:32], v[27:28]
	;; [unrolled: 3-line block ×3, first 2 shown]
	v_cvt_i32_f64_e32 v42, v[42:43]
	v_add_f64 v[33:34], v[33:34], -v[46:47]
	v_cvt_f64_i32_e32 v[40:41], v42
	v_add_f64 v[25:26], v[25:26], v[33:34]
	v_add_f64 v[27:28], v[27:28], -v[40:41]
	v_add_f64 v[21:22], v[23:24], v[25:26]
	v_add_f64 v[23:24], v[31:32], v[27:28]
	;; [unrolled: 1-line block ×3, first 2 shown]
	v_add_f64 v[21:22], v[23:24], -v[27:28]
	v_cmp_le_f64_e32 vcc_lo, 0.5, v[23:24]
	v_add_f64 v[17:18], v[19:20], v[17:18]
	v_add_f64 v[19:20], v[31:32], -v[21:22]
	v_cndmask_b32_e64 v40, 0, 0x3ff00000, vcc_lo
	v_add_co_ci_u32_e64 v29, null, 0, v42, vcc_lo
	v_add_f64 v[17:18], v[17:18], v[19:20]
	v_add_f64 v[19:20], v[23:24], -v[39:40]
	v_add_f64 v[21:22], v[19:20], v[17:18]
	v_mul_f64 v[23:24], v[21:22], s[2:3]
	v_add_f64 v[19:20], v[21:22], -v[19:20]
	v_fma_f64 v[25:26], v[21:22], s[2:3], -v[23:24]
	v_add_f64 v[17:18], v[17:18], -v[19:20]
	v_fma_f64 v[19:20], v[21:22], s[8:9], v[25:26]
	v_fma_f64 v[19:20], v[17:18], s[2:3], v[19:20]
	v_add_f64 v[17:18], v[23:24], v[19:20]
	v_add_f64 v[21:22], v[17:18], -v[23:24]
	v_add_f64 v[21:22], v[19:20], -v[21:22]
	s_andn2_saveexec_b32 s0, s0
	s_cbranch_execnz .LBB7_102
	s_branch .LBB7_103
.LBB7_101:
	s_andn2_saveexec_b32 s0, s0
	s_cbranch_execz .LBB7_103
.LBB7_102:
	s_mov_b32 s2, 0x6dc9c883
	s_mov_b32 s3, 0x3fe45f30
	;; [unrolled: 1-line block ×3, first 2 shown]
	v_mul_f64 v[17:18], |v[9:10]|, s[2:3]
	s_mov_b32 s2, 0x54442d18
	s_mov_b32 s3, 0xbff921fb
	;; [unrolled: 1-line block ×3, first 2 shown]
	v_rndne_f64_e32 v[19:20], v[17:18]
	v_fma_f64 v[17:18], v[19:20], s[2:3], |v[9:10]|
	v_mul_f64 v[21:22], v[19:20], s[8:9]
	s_mov_b32 s2, 0x252049c0
	s_mov_b32 s3, 0xb97b839a
	v_cvt_i32_f64_e32 v29, v[19:20]
	v_fma_f64 v[25:26], v[19:20], s[8:9], v[17:18]
	v_add_f64 v[23:24], v[17:18], v[21:22]
	s_mov_b32 s9, 0x3c91a626
	v_add_f64 v[17:18], v[17:18], -v[23:24]
	v_add_f64 v[23:24], v[23:24], -v[25:26]
	v_add_f64 v[17:18], v[17:18], v[21:22]
	v_fma_f64 v[21:22], v[19:20], s[8:9], v[21:22]
	v_add_f64 v[17:18], v[23:24], v[17:18]
	v_add_f64 v[17:18], v[17:18], -v[21:22]
	v_fma_f64 v[21:22], v[19:20], s[2:3], v[17:18]
	v_add_f64 v[17:18], v[25:26], v[21:22]
	v_add_f64 v[23:24], v[17:18], -v[25:26]
	v_add_f64 v[21:22], v[21:22], -v[23:24]
.LBB7_103:
	s_or_b32 exec_lo, exec_lo, s0
	v_div_scale_f64 v[19:20], null, v[11:12], v[11:12], 0x40140000
	v_div_scale_f64 v[27:28], vcc_lo, 0x40140000, v[11:12], 0x40140000
	s_mov_b32 s0, 0x6b70ba40
	s_mov_b32 s1, 0x3faa27fa
	;; [unrolled: 1-line block ×8, first 2 shown]
	v_mul_f64 v[36:37], v[17:18], v[17:18]
	v_mul_f64 v[48:49], v[13:14], v[13:14]
	s_mov_b32 s14, 0x9037ab78
	s_mov_b32 s16, 0x46cc5e42
	;; [unrolled: 1-line block ×6, first 2 shown]
	v_mul_f64 v[58:59], v[21:22], 0.5
	v_mul_f64 v[74:75], v[15:16], 0.5
	v_rcp_f64_e32 v[23:24], v[19:20]
	v_fma_f64 v[50:51], v[36:37], s[16:17], s[14:15]
	v_mul_f64 v[52:53], v[36:37], 0.5
	v_fma_f64 v[60:61], v[48:49], s[16:17], s[14:15]
	v_mul_f64 v[62:63], v[48:49], 0.5
	v_mul_f64 v[64:65], v[17:18], -v[36:37]
	v_mul_f64 v[76:77], v[13:14], -v[48:49]
	v_mul_f64 v[80:81], v[36:37], v[36:37]
	v_fma_f64 v[25:26], -v[19:20], v[23:24], 1.0
	v_fma_f64 v[23:24], v[23:24], v[25:26], v[23:24]
	v_fma_f64 v[25:26], -v[19:20], v[23:24], 1.0
	v_fma_f64 v[23:24], v[23:24], v[25:26], v[23:24]
	v_mul_f64 v[25:26], v[27:28], v[23:24]
	v_fma_f64 v[19:20], -v[19:20], v[25:26], v[27:28]
	v_div_fmas_f64 v[19:20], v[19:20], v[23:24], v[25:26]
	v_div_fixup_f64 v[19:20], v[19:20], v[11:12], 0x40140000
	v_mul_f64 v[23:24], v[19:20], v[19:20]
	v_fma_f64 v[25:26], v[23:24], 0, s[0:1]
	s_mov_b32 s0, 0x4c6c651b
	s_mov_b32 s1, 0x3f48f92c
	v_fma_f64 v[27:28], v[23:24], 0, s[2:3]
	v_fma_f64 v[30:31], v[23:24], 0, s[0:1]
	v_fma_f64 v[32:33], v[23:24], 0, s[10:11]
	s_mov_b32 s0, 0xa3fec4b6
	s_mov_b32 s2, 0x5948aa83
	s_mov_b32 s1, 0x3fb2b948
	s_mov_b32 s3, 0x3fb19fdd
	s_mov_b32 s10, 0xa20e5f6f
	s_mov_b32 s11, 0x409081cb
	v_fma_f64 v[25:26], v[23:24], v[25:26], s[8:9]
	s_mov_b32 s8, 0x9acf1c67
	s_mov_b32 s9, 0x4052f4b9
	v_fma_f64 v[27:28], v[23:24], v[27:28], s[2:3]
	v_fma_f64 v[30:31], v[23:24], v[30:31], s[0:1]
	v_fma_f64 v[32:33], v[23:24], v[32:33], s[10:11]
	s_mov_b32 s0, 0xc21596d6
	s_mov_b32 s2, 0xb850eed6
	s_mov_b32 s1, 0x3ff208fe
	s_mov_b32 s3, 0x3ff1aea9
	s_mov_b32 s10, 0x1bfdfe81
	s_mov_b32 s11, 0x40b37a69
	;; [unrolled: 12-line block ×6, first 2 shown]
	v_fma_f64 v[25:26], v[23:24], v[25:26], s[8:9]
	s_mov_b32 s8, 0xb42fdfa7
	s_mov_b32 s9, 0xbe5ae600
	v_fma_f64 v[27:28], v[23:24], v[27:28], 1.0
	v_fma_f64 v[30:31], v[23:24], v[30:31], 1.0
	v_fma_f64 v[32:33], v[23:24], v[32:33], s[2:3]
	v_fma_f64 v[42:43], v[36:37], s[10:11], s[8:9]
	s_mov_b32 s2, 0x796cde01
	s_mov_b32 s3, 0x3ec71de3
	v_fma_f64 v[23:24], v[23:24], v[25:26], s[0:1]
	v_cmp_gt_f64_e64 s0, 0x10000000, v[11:12]
	v_div_scale_f64 v[25:26], null, v[27:28], v[27:28], v[30:31]
	v_fma_f64 v[42:43], v[36:37], v[42:43], s[2:3]
	v_div_scale_f64 v[70:71], vcc_lo, v[30:31], v[27:28], v[30:31]
	v_div_scale_f64 v[34:35], null, v[32:33], v[32:33], v[23:24]
	v_rcp_f64_e32 v[38:39], v[25:26]
	v_fma_f64 v[42:43], v[36:37], v[42:43], s[18:19]
	v_rcp_f64_e32 v[40:41], v[34:35]
	v_fma_f64 v[44:45], -v[25:26], v[38:39], 1.0
	v_fma_f64 v[46:47], -v[34:35], v[40:41], 1.0
	v_fma_f64 v[38:39], v[38:39], v[44:45], v[38:39]
	v_fma_f64 v[44:45], v[48:49], s[10:11], s[8:9]
	s_mov_b32 s8, 0xa17f65f6
	s_mov_b32 s9, 0xbe927e4f
	;; [unrolled: 1-line block ×4, first 2 shown]
	v_fma_f64 v[42:43], v[36:37], v[42:43], s[10:11]
	v_fma_f64 v[40:41], v[40:41], v[46:47], v[40:41]
	v_cndmask_b32_e64 v46, 0, 0x100, s0
	v_fma_f64 v[54:55], -v[25:26], v[38:39], 1.0
	v_fma_f64 v[44:45], v[48:49], v[44:45], s[2:3]
	v_ldexp_f64 v[11:12], v[11:12], v46
	v_fma_f64 v[46:47], v[36:37], v[50:51], s[8:9]
	v_add_f64 v[50:51], -v[52:53], 1.0
	s_mov_b32 s2, 0x19f4ec90
	s_mov_b32 s3, 0x3efa01a0
	v_fma_f64 v[42:43], v[64:65], v[42:43], v[58:59]
	v_fma_f64 v[56:57], -v[34:35], v[40:41], 1.0
	v_fma_f64 v[38:39], v[38:39], v[54:55], v[38:39]
	v_div_scale_f64 v[54:55], s1, v[23:24], v[32:33], v[23:24]
	v_rsq_f64_e32 v[66:67], v[11:12]
	v_fma_f64 v[46:47], v[36:37], v[46:47], s[2:3]
	v_add_f64 v[68:69], -v[50:51], 1.0
	v_fma_f64 v[44:45], v[48:49], v[44:45], s[18:19]
	v_fma_f64 v[42:43], v[36:37], v[42:43], -v[21:22]
	v_fma_f64 v[40:41], v[40:41], v[56:57], v[40:41]
	v_fma_f64 v[56:57], v[48:49], v[60:61], s[8:9]
	v_add_f64 v[60:61], -v[62:63], 1.0
	s_mov_b32 s8, 0x16c16967
	s_mov_b32 s9, 0xbf56c16c
	v_fma_f64 v[46:47], v[36:37], v[46:47], s[8:9]
	v_mul_f64 v[58:59], v[11:12], v[66:67]
	v_mul_f64 v[66:67], v[66:67], 0.5
	v_add_f64 v[52:53], v[68:69], -v[52:53]
	v_mul_f64 v[68:69], v[70:71], v[38:39]
	v_fma_f64 v[44:45], v[48:49], v[44:45], s[10:11]
	s_mov_b32 s11, 0xbfc55555
	v_mul_f64 v[72:73], v[54:55], v[40:41]
	v_fma_f64 v[56:57], v[48:49], v[56:57], s[2:3]
	v_add_f64 v[78:79], -v[60:61], 1.0
	s_mov_b32 s2, 0x55555555
	s_mov_b32 s3, 0x3fa55555
	;; [unrolled: 1-line block ×3, first 2 shown]
	v_fma_f64 v[42:43], v[64:65], s[10:11], v[42:43]
	v_fma_f64 v[36:37], v[36:37], v[46:47], s[2:3]
	v_fma_f64 v[82:83], -v[66:67], v[58:59], 0.5
	v_fma_f64 v[21:22], v[17:18], -v[21:22], v[52:53]
	v_fma_f64 v[25:26], -v[25:26], v[68:69], v[70:71]
	v_fma_f64 v[44:45], v[76:77], v[44:45], v[74:75]
	v_fma_f64 v[34:35], -v[34:35], v[72:73], v[54:55]
	v_fma_f64 v[46:47], v[48:49], v[56:57], s[8:9]
	v_add_f64 v[52:53], v[78:79], -v[62:63]
	v_add_f64 v[17:18], v[17:18], -v[42:43]
	v_fma_f64 v[54:55], v[58:59], v[82:83], v[58:59]
	v_fma_f64 v[21:22], v[80:81], v[36:37], v[21:22]
	v_div_fmas_f64 v[25:26], v[25:26], v[38:39], v[68:69]
	s_mov_b32 vcc_lo, s1
	v_mul_f64 v[36:37], v[48:49], v[48:49]
	v_fma_f64 v[42:43], v[66:67], v[82:83], v[66:67]
	v_div_fmas_f64 v[34:35], v[34:35], v[40:41], v[72:73]
	v_fma_f64 v[38:39], v[48:49], v[46:47], s[2:3]
	v_fma_f64 v[40:41], v[13:14], -v[15:16], v[52:53]
	v_fma_f64 v[15:16], v[48:49], v[44:45], -v[15:16]
	v_xor_b32_e32 v18, 0x80000000, v18
	v_fma_f64 v[44:45], -v[54:55], v[54:55], v[11:12]
	v_add_f64 v[21:22], v[50:51], v[21:22]
	v_div_fixup_f64 v[23:24], v[34:35], v[32:33], v[23:24]
	v_and_b32_e32 v34, 1, v29
	v_fma_f64 v[32:33], v[36:37], v[38:39], v[40:41]
	v_fma_f64 v[15:16], v[76:77], s[10:11], v[15:16]
	v_cmp_eq_u32_e32 vcc_lo, 0, v34
	v_fma_f64 v[34:35], v[44:45], v[42:43], v[54:55]
	v_cndmask_b32_e32 v22, v18, v22, vcc_lo
	v_cndmask_b32_e32 v21, v17, v21, vcc_lo
	v_cmp_class_f64_e64 vcc_lo, v[9:10], 0x1f8
	v_lshlrev_b32_e32 v9, 30, v29
	v_and_b32_e32 v9, 0x80000000, v9
	v_mul_f64 v[17:18], v[19:20], v[23:24]
	v_lshlrev_b32_e32 v23, 30, v4
	v_add_f64 v[19:20], v[60:61], v[32:33]
	v_add_f64 v[13:14], v[13:14], -v[15:16]
	v_xor_b32_e32 v9, v22, v9
	v_and_b32_e32 v4, 1, v4
	v_xor_b32_e32 v23, v23, v10
	v_fma_f64 v[15:16], -v[34:35], v[34:35], v[11:12]
	v_cmp_eq_u32_e64 s1, 0, v4
	v_cndmask_b32_e32 v21, 0, v21, vcc_lo
	v_cndmask_b32_e32 v22, 0x7ff80000, v9, vcc_lo
	v_div_fixup_f64 v[9:10], v[25:26], v[27:28], v[30:31]
	v_mul_f64 v[17:18], v[17:18], v[21:22]
	v_and_b32_e32 v21, 0x80000000, v23
	v_cndmask_b32_e64 v4, v20, v14, s1
	v_cndmask_b32_e64 v19, v19, v13, s1
	v_xor_b32_e32 v4, v4, v21
	v_fma_f64 v[13:14], v[15:16], v[42:43], v[34:35]
	v_cndmask_b32_e32 v15, 0, v19, vcc_lo
	v_cndmask_b32_e32 v16, 0x7ff80000, v4, vcc_lo
	v_cndmask_b32_e64 v4, 0, 0xffffff80, s0
	v_cmp_class_f64_e64 vcc_lo, v[11:12], 0x260
	s_mov_b32 s0, 0x33d43651
	s_mov_b32 s1, 0x3fe98845
	v_fma_f64 v[9:10], v[9:10], v[15:16], v[17:18]
	v_ldexp_f64 v[13:14], v[13:14], v4
	v_mul_f64 v[9:10], v[9:10], s[0:1]
	v_cndmask_b32_e32 v12, v14, v12, vcc_lo
	v_cndmask_b32_e32 v11, v13, v11, vcc_lo
	v_div_scale_f64 v[13:14], null, v[11:12], v[11:12], v[9:10]
	v_rcp_f64_e32 v[15:16], v[13:14]
	v_fma_f64 v[17:18], -v[13:14], v[15:16], 1.0
	v_fma_f64 v[15:16], v[15:16], v[17:18], v[15:16]
	v_fma_f64 v[17:18], -v[13:14], v[15:16], 1.0
	v_fma_f64 v[15:16], v[15:16], v[17:18], v[15:16]
	v_div_scale_f64 v[17:18], vcc_lo, v[9:10], v[11:12], v[9:10]
	v_mul_f64 v[19:20], v[17:18], v[15:16]
	v_fma_f64 v[13:14], -v[13:14], v[19:20], v[17:18]
	v_div_fmas_f64 v[13:14], v[13:14], v[15:16], v[19:20]
	v_div_fixup_f64 v[9:10], v[13:14], v[11:12], v[9:10]
.LBB7_104:
	s_or_b32 exec_lo, exec_lo, s12
	global_load_dwordx2 v[13:14], v8, s[6:7]
                                        ; implicit-def: $vgpr11_vgpr12
	s_mov_b32 s0, exec_lo
	s_waitcnt vmcnt(0)
	v_cmpx_ge_f64_e32 0x40140000, v[13:14]
	s_xor_b32 s2, exec_lo, s0
	s_cbranch_execz .LBB7_110
; %bb.105:
	v_mov_b32_e32 v11, 0
	v_mov_b32_e32 v12, 0xfff00000
	s_mov_b32 s3, exec_lo
	v_cmpx_neq_f64_e32 0, v[13:14]
	s_cbranch_execz .LBB7_109
; %bb.106:
	v_mov_b32_e32 v11, 0
	v_mov_b32_e32 v12, 0x7ff80000
	s_mov_b32 s8, exec_lo
	v_cmpx_nge_f64_e32 0, v[13:14]
	s_cbranch_execz .LBB7_108
; %bb.107:
	v_frexp_mant_f64_e32 v[11:12], v[13:14]
	s_mov_b32 s1, 0x3fe55555
	s_mov_b32 s0, 0x55555555
	;; [unrolled: 1-line block ×10, first 2 shown]
	v_cmp_gt_f64_e32 vcc_lo, s[0:1], v[11:12]
	s_mov_b32 s0, 0x55555780
	v_cndmask_b32_e64 v4, 0, 1, vcc_lo
	v_ldexp_f64 v[11:12], v[11:12], v4
	v_frexp_exp_i32_f64_e32 v4, v[13:14]
	v_add_f64 v[15:16], v[11:12], 1.0
	v_add_f64 v[21:22], v[11:12], -1.0
	v_subrev_co_ci_u32_e64 v4, null, 0, v4, vcc_lo
	v_rcp_f64_e32 v[17:18], v[15:16]
	v_add_f64 v[23:24], v[15:16], -1.0
	v_add_f64 v[11:12], v[11:12], -v[23:24]
	v_fma_f64 v[19:20], -v[15:16], v[17:18], 1.0
	v_fma_f64 v[17:18], v[19:20], v[17:18], v[17:18]
	v_fma_f64 v[19:20], -v[15:16], v[17:18], 1.0
	v_fma_f64 v[17:18], v[19:20], v[17:18], v[17:18]
	v_mul_f64 v[19:20], v[21:22], v[17:18]
	v_mul_f64 v[25:26], v[15:16], v[19:20]
	v_fma_f64 v[15:16], v[19:20], v[15:16], -v[25:26]
	v_fma_f64 v[11:12], v[19:20], v[11:12], v[15:16]
	v_add_f64 v[15:16], v[25:26], v[11:12]
	v_add_f64 v[23:24], v[21:22], -v[15:16]
	v_add_f64 v[25:26], v[15:16], -v[25:26]
	;; [unrolled: 1-line block ×5, first 2 shown]
	v_add_f64 v[11:12], v[11:12], v[15:16]
	v_add_f64 v[11:12], v[23:24], v[11:12]
	v_mul_f64 v[23:24], v[13:14], v[13:14]
	v_mul_f64 v[11:12], v[17:18], v[11:12]
	v_add_f64 v[15:16], v[19:20], v[11:12]
	v_mul_f64 v[17:18], v[15:16], v[15:16]
	v_ldexp_f64 v[33:34], v[15:16], 1
	v_fma_f64 v[21:22], v[17:18], s[12:13], s[10:11]
	s_mov_b32 s10, 0xd7f4df2e
	s_mov_b32 s11, 0x3fc7474d
	;; [unrolled: 1-line block ×4, first 2 shown]
	v_mul_f64 v[31:32], v[15:16], v[17:18]
	v_fma_f64 v[27:28], v[23:24], 0, s[12:13]
	s_mov_b32 s12, 0xdd701b2
	s_mov_b32 s13, 0x410f5eda
	v_add_f64 v[15:16], v[15:16], -v[19:20]
	v_fma_f64 v[21:22], v[17:18], v[21:22], s[10:11]
	s_mov_b32 s10, 0xa93f7ac2
	s_mov_b32 s11, 0x40829269
	v_fma_f64 v[25:26], v[23:24], 0, s[10:11]
	s_mov_b32 s10, 0x16291751
	s_mov_b32 s11, 0x3fcc71c0
	;; [unrolled: 3-line block ×3, first 2 shown]
	v_add_f64 v[11:12], v[11:12], -v[15:16]
	v_fma_f64 v[21:22], v[17:18], v[21:22], s[10:11]
	s_mov_b32 s10, 0xbe58ef7f
	s_mov_b32 s11, 0x410cc160
	v_fma_f64 v[25:26], v[23:24], v[25:26], s[10:11]
	s_mov_b32 s10, 0x9b27acf1
	s_mov_b32 s11, 0x3fd24924
	v_fma_f64 v[27:28], v[23:24], v[27:28], s[14:15]
	s_mov_b32 s14, 0x7befeac1
	s_mov_b32 s15, 0x4214a13f
	v_ldexp_f64 v[11:12], v[11:12], 1
	v_fma_f64 v[21:22], v[17:18], v[21:22], s[10:11]
	s_mov_b32 s10, 0x62f9b6c5
	s_mov_b32 s11, 0x41d2d2be
	v_fma_f64 v[29:30], v[23:24], 0, s[10:11]
	v_fma_f64 v[25:26], v[23:24], v[25:26], s[12:13]
	s_mov_b32 s10, 0x998ef7b6
	s_mov_b32 s11, 0x3fd99999
	;; [unrolled: 1-line block ×4, first 2 shown]
	v_fma_f64 v[27:28], v[23:24], v[27:28], s[14:15]
	s_mov_b32 s14, 0x8076ffa8
	s_mov_b32 s15, 0x429146fb
	v_fma_f64 v[21:22], v[17:18], v[21:22], s[10:11]
	s_mov_b32 s10, 0x58836521
	s_mov_b32 s11, 0xc262d72d
	v_fma_f64 v[29:30], v[23:24], v[29:30], s[10:11]
	v_fma_f64 v[25:26], v[23:24], v[25:26], s[12:13]
	s_mov_b32 s10, 0xfda99316
	s_mov_b32 s12, 0x4cda4fc5
	;; [unrolled: 1-line block ×4, first 2 shown]
	v_fma_f64 v[27:28], v[23:24], v[27:28], s[14:15]
	s_mov_b32 s14, 0x3eccf45f
	s_mov_b32 s15, 0x43064b0a
	v_fma_f64 v[17:18], v[17:18], v[21:22], s[0:1]
	s_mov_b32 s0, 0xb0910fef
	s_mov_b32 s1, 0x42da0954
	v_fma_f64 v[21:22], v[23:24], v[29:30], s[0:1]
	v_fma_f64 v[25:26], v[23:24], v[25:26], s[10:11]
	;; [unrolled: 1-line block ×3, first 2 shown]
	s_mov_b32 s0, 0x37a1b083
	s_mov_b32 s10, 0xd71d1e4e
	;; [unrolled: 1-line block ×6, first 2 shown]
	v_fma_f64 v[27:28], v[23:24], v[27:28], s[14:15]
	s_mov_b32 s14, 0xf4653f81
	s_mov_b32 s15, 0x4373e0bf
	v_mul_f64 v[17:18], v[31:32], v[17:18]
	v_cvt_f64_i32_e32 v[31:32], v4
	v_fma_f64 v[21:22], v[23:24], v[21:22], s[0:1]
	v_fma_f64 v[25:26], v[23:24], v[25:26], s[10:11]
	;; [unrolled: 1-line block ×3, first 2 shown]
	s_mov_b32 s0, 0xb7366b1
	s_mov_b32 s10, 0xc547a488
	;; [unrolled: 1-line block ×6, first 2 shown]
	v_fma_f64 v[27:28], v[23:24], v[27:28], s[14:15]
	s_mov_b32 s14, 0xa697c482
	s_mov_b32 s15, 0x432a2b42
	v_add_f64 v[19:20], v[33:34], v[17:18]
	v_mul_f64 v[35:36], v[31:32], s[16:17]
	v_fma_f64 v[21:22], v[23:24], v[21:22], s[0:1]
	v_fma_f64 v[25:26], v[23:24], v[25:26], s[10:11]
	;; [unrolled: 1-line block ×3, first 2 shown]
	s_mov_b32 s0, 0x90f6747f
	s_mov_b32 s10, 0x5dde2b17
	;; [unrolled: 1-line block ×6, first 2 shown]
	v_add_f64 v[15:16], v[19:20], -v[33:34]
	v_fma_f64 v[21:22], v[23:24], v[21:22], s[10:11]
	v_fma_f64 v[25:26], v[23:24], v[25:26], s[0:1]
	;; [unrolled: 1-line block ×4, first 2 shown]
	v_fma_f64 v[27:28], v[31:32], s[16:17], -v[35:36]
	s_mov_b32 s0, 0x3b39803f
	s_mov_b32 s1, 0x3c7abc9e
	v_add_f64 v[15:16], v[17:18], -v[15:16]
	v_div_scale_f64 v[17:18], null, v[25:26], v[25:26], v[21:22]
	v_div_scale_f64 v[33:34], null, v[23:24], v[23:24], v[29:30]
	v_fma_f64 v[27:28], v[31:32], s[0:1], v[27:28]
	v_add_f64 v[11:12], v[11:12], v[15:16]
	v_rcp_f64_e32 v[15:16], v[17:18]
	v_rcp_f64_e32 v[31:32], v[33:34]
	v_add_f64 v[37:38], v[35:36], v[27:28]
	v_add_f64 v[39:40], v[19:20], v[11:12]
	v_fma_f64 v[41:42], -v[17:18], v[15:16], 1.0
	v_fma_f64 v[43:44], -v[33:34], v[31:32], 1.0
	v_add_f64 v[35:36], v[37:38], -v[35:36]
	v_add_f64 v[45:46], v[37:38], v[39:40]
	v_add_f64 v[19:20], v[39:40], -v[19:20]
	v_fma_f64 v[15:16], v[15:16], v[41:42], v[15:16]
	v_fma_f64 v[31:32], v[31:32], v[43:44], v[31:32]
	v_div_scale_f64 v[43:44], null, v[13:14], v[13:14], -1.0
	v_add_f64 v[27:28], v[27:28], -v[35:36]
	v_div_scale_f64 v[35:36], vcc_lo, v[21:22], v[25:26], v[21:22]
	v_add_f64 v[41:42], v[45:46], -v[37:38]
	v_add_f64 v[11:12], v[11:12], -v[19:20]
	v_fma_f64 v[47:48], -v[17:18], v[15:16], 1.0
	v_fma_f64 v[49:50], -v[33:34], v[31:32], 1.0
	v_rcp_f64_e32 v[53:54], v[43:44]
	v_add_f64 v[51:52], v[45:46], -v[41:42]
	v_add_f64 v[19:20], v[39:40], -v[41:42]
	v_fma_f64 v[15:16], v[15:16], v[47:48], v[15:16]
	v_div_scale_f64 v[47:48], s0, v[29:30], v[23:24], v[29:30]
	v_fma_f64 v[31:32], v[31:32], v[49:50], v[31:32]
	v_fma_f64 v[39:40], -v[43:44], v[53:54], 1.0
	v_add_f64 v[37:38], v[37:38], -v[51:52]
	v_add_f64 v[51:52], v[27:28], v[11:12]
	v_mul_f64 v[41:42], v[35:36], v[15:16]
	v_mul_f64 v[49:50], v[47:48], v[31:32]
	v_add_f64 v[19:20], v[19:20], v[37:38]
	v_fma_f64 v[37:38], v[53:54], v[39:40], v[53:54]
	v_fma_f64 v[17:18], -v[17:18], v[41:42], v[35:36]
	v_add_f64 v[35:36], v[51:52], -v[27:28]
	v_fma_f64 v[33:34], -v[33:34], v[49:50], v[47:48]
	v_add_f64 v[19:20], v[51:52], v[19:20]
	v_fma_f64 v[39:40], -v[43:44], v[37:38], 1.0
	v_div_fmas_f64 v[15:16], v[17:18], v[15:16], v[41:42]
	s_mov_b32 vcc_lo, s0
	v_add_f64 v[11:12], v[11:12], -v[35:36]
	v_div_fmas_f64 v[17:18], v[33:34], v[31:32], v[49:50]
	v_add_f64 v[31:32], v[51:52], -v[35:36]
	v_div_scale_f64 v[41:42], vcc_lo, -1.0, v[13:14], -1.0
	s_mov_b32 s0, 0x4189822c
	s_mov_b32 s1, 0xc02d5d2b
	v_add_f64 v[33:34], v[45:46], v[19:20]
	v_fma_f64 v[37:38], v[37:38], v[39:40], v[37:38]
	v_div_fixup_f64 v[15:16], v[15:16], v[25:26], v[21:22]
	v_div_fixup_f64 v[17:18], v[17:18], v[23:24], v[29:30]
	v_add_f64 v[23:24], v[27:28], -v[31:32]
	v_fma_f64 v[31:32], v[13:14], v[13:14], s[0:1]
	s_mov_b32 s0, 0x6072a432
	s_mov_b32 s1, 0xc0489bf6
	v_add_f64 v[27:28], v[33:34], -v[45:46]
	v_mul_f64 v[29:30], v[41:42], v[37:38]
	v_mul_f64 v[17:18], v[13:14], v[17:18]
	v_add_f64 v[11:12], v[11:12], v[23:24]
	v_add_f64 v[19:20], v[19:20], -v[27:28]
	v_fma_f64 v[23:24], -v[43:44], v[29:30], v[41:42]
	v_fma_f64 v[27:28], v[13:14], v[13:14], s[0:1]
	s_mov_b32 s0, 0x6dc9c883
	s_mov_b32 s1, 0x3fe45f30
	v_mul_f64 v[17:18], v[31:32], v[17:18]
	v_add_f64 v[11:12], v[11:12], v[19:20]
	v_div_fmas_f64 v[19:20], v[23:24], v[37:38], v[29:30]
	v_mul_f64 v[17:18], v[27:28], v[17:18]
	v_add_f64 v[11:12], v[33:34], v[11:12]
	v_div_fixup_f64 v[19:20], v[19:20], v[13:14], -1.0
	v_fma_f64 v[11:12], v[17:18], v[11:12], v[19:20]
	v_mul_f64 v[11:12], v[11:12], s[0:1]
	v_fma_f64 v[11:12], v[13:14], v[15:16], v[11:12]
.LBB7_108:
	s_or_b32 exec_lo, exec_lo, s8
.LBB7_109:
	s_or_b32 exec_lo, exec_lo, s3
                                        ; implicit-def: $vgpr13_vgpr14
.LBB7_110:
	s_andn2_saveexec_b32 s12, s2
	s_cbranch_execz .LBB7_120
; %bb.111:
	s_mov_b32 s0, 0x7f3321d2
	s_mov_b32 s1, 0xc002d97c
                                        ; implicit-def: $vgpr4
                                        ; implicit-def: $vgpr15_vgpr16
                                        ; implicit-def: $vgpr17_vgpr18
	v_add_f64 v[11:12], v[13:14], s[0:1]
	v_cmp_ngt_f64_e64 s0, 0x41d00000, |v[11:12]|
	v_trig_preop_f64 v[27:28], |v[11:12]|, 0
	v_trig_preop_f64 v[25:26], |v[11:12]|, 1
	v_ldexp_f64 v[29:30], |v[11:12]|, 0xffffff80
	v_trig_preop_f64 v[21:22], |v[11:12]|, 2
	v_and_b32_e32 v31, 0x7fffffff, v12
	s_and_saveexec_b32 s1, s0
	s_xor_b32 s1, exec_lo, s1
	s_cbranch_execz .LBB7_113
; %bb.112:
	v_cmp_le_f64_e64 vcc_lo, 0x7b000000, |v[11:12]|
	v_mov_b32_e32 v44, 0
	s_mov_b32 s2, 0x54442d18
	s_mov_b32 s3, 0x3ff921fb
	;; [unrolled: 1-line block ×4, first 2 shown]
	v_cndmask_b32_e32 v16, v31, v30, vcc_lo
	v_cndmask_b32_e32 v15, v11, v29, vcc_lo
	v_mul_f64 v[17:18], v[27:28], v[15:16]
	v_mul_f64 v[19:20], v[25:26], v[15:16]
	;; [unrolled: 1-line block ×3, first 2 shown]
	v_fma_f64 v[23:24], v[27:28], v[15:16], -v[17:18]
	v_fma_f64 v[42:43], v[25:26], v[15:16], -v[19:20]
	;; [unrolled: 1-line block ×3, first 2 shown]
	v_add_f64 v[32:33], v[19:20], v[23:24]
	v_add_f64 v[34:35], v[32:33], -v[19:20]
	v_add_f64 v[38:39], v[17:18], v[32:33]
	v_add_f64 v[36:37], v[32:33], -v[34:35]
	v_add_f64 v[23:24], v[23:24], -v[34:35]
	v_ldexp_f64 v[34:35], v[38:39], -2
	v_add_f64 v[17:18], v[38:39], -v[17:18]
	v_add_f64 v[19:20], v[19:20], -v[36:37]
	v_add_f64 v[36:37], v[40:41], v[42:43]
	v_cmp_neq_f64_e64 vcc_lo, 0x7ff00000, |v[34:35]|
	v_add_f64 v[17:18], v[32:33], -v[17:18]
	v_add_f64 v[19:20], v[23:24], v[19:20]
	v_fract_f64_e32 v[23:24], v[34:35]
	v_add_f64 v[32:33], v[36:37], v[19:20]
	v_ldexp_f64 v[23:24], v[23:24], 2
	v_add_f64 v[34:35], v[17:18], v[32:33]
	v_cndmask_b32_e32 v24, 0, v24, vcc_lo
	v_cndmask_b32_e32 v23, 0, v23, vcc_lo
	v_add_f64 v[38:39], v[34:35], v[23:24]
	v_add_f64 v[17:18], v[34:35], -v[17:18]
	v_cmp_gt_f64_e32 vcc_lo, 0, v[38:39]
	v_add_f64 v[38:39], v[36:37], -v[40:41]
	v_add_f64 v[17:18], v[32:33], -v[17:18]
	v_cndmask_b32_e64 v45, 0, 0x40100000, vcc_lo
	v_add_f64 v[49:50], v[36:37], -v[38:39]
	v_add_f64 v[38:39], v[42:43], -v[38:39]
	v_add_f64 v[23:24], v[23:24], v[44:45]
	v_add_f64 v[45:46], v[32:33], -v[36:37]
	v_add_f64 v[42:43], v[40:41], -v[49:50]
	v_add_f64 v[47:48], v[34:35], v[23:24]
	v_add_f64 v[51:52], v[32:33], -v[45:46]
	v_add_f64 v[19:20], v[19:20], -v[45:46]
	v_add_f64 v[38:39], v[38:39], v[42:43]
	v_cvt_i32_f64_e32 v4, v[47:48]
	v_add_f64 v[36:37], v[36:37], -v[51:52]
	v_cvt_f64_i32_e32 v[45:46], v4
	v_add_f64 v[19:20], v[19:20], v[36:37]
	v_add_f64 v[23:24], v[23:24], -v[45:46]
	v_add_f64 v[19:20], v[38:39], v[19:20]
	v_add_f64 v[36:37], v[34:35], v[23:24]
	;; [unrolled: 1-line block ×3, first 2 shown]
	v_add_f64 v[19:20], v[36:37], -v[23:24]
	v_cmp_le_f64_e32 vcc_lo, 0.5, v[36:37]
	v_add_f64 v[15:16], v[17:18], v[15:16]
	v_add_f64 v[17:18], v[34:35], -v[19:20]
	v_cndmask_b32_e64 v45, 0, 0x3ff00000, vcc_lo
	v_add_co_ci_u32_e64 v4, null, 0, v4, vcc_lo
	v_add_f64 v[15:16], v[15:16], v[17:18]
	v_add_f64 v[17:18], v[36:37], -v[44:45]
	v_add_f64 v[19:20], v[17:18], v[15:16]
	v_mul_f64 v[23:24], v[19:20], s[2:3]
	v_add_f64 v[17:18], v[19:20], -v[17:18]
	v_fma_f64 v[32:33], v[19:20], s[2:3], -v[23:24]
	v_add_f64 v[15:16], v[15:16], -v[17:18]
	v_fma_f64 v[17:18], v[19:20], s[8:9], v[32:33]
	v_fma_f64 v[17:18], v[15:16], s[2:3], v[17:18]
	v_add_f64 v[15:16], v[23:24], v[17:18]
	v_add_f64 v[19:20], v[15:16], -v[23:24]
	v_add_f64 v[17:18], v[17:18], -v[19:20]
	s_andn2_saveexec_b32 s1, s1
	s_cbranch_execz .LBB7_115
	s_branch .LBB7_114
.LBB7_113:
	s_andn2_saveexec_b32 s1, s1
	s_cbranch_execz .LBB7_115
.LBB7_114:
	s_mov_b32 s2, 0x6dc9c883
	s_mov_b32 s3, 0x3fe45f30
	;; [unrolled: 1-line block ×3, first 2 shown]
	v_mul_f64 v[15:16], |v[11:12]|, s[2:3]
	s_mov_b32 s2, 0x54442d18
	s_mov_b32 s3, 0xbff921fb
	s_mov_b32 s8, 0x33145c00
	v_rndne_f64_e32 v[19:20], v[15:16]
	v_fma_f64 v[15:16], v[19:20], s[2:3], |v[11:12]|
	v_mul_f64 v[17:18], v[19:20], s[8:9]
	s_mov_b32 s2, 0x252049c0
	s_mov_b32 s3, 0xb97b839a
	v_cvt_i32_f64_e32 v4, v[19:20]
	v_fma_f64 v[32:33], v[19:20], s[8:9], v[15:16]
	v_add_f64 v[23:24], v[15:16], v[17:18]
	s_mov_b32 s9, 0x3c91a626
	v_add_f64 v[15:16], v[15:16], -v[23:24]
	v_add_f64 v[23:24], v[23:24], -v[32:33]
	v_add_f64 v[15:16], v[15:16], v[17:18]
	v_fma_f64 v[17:18], v[19:20], s[8:9], v[17:18]
	v_add_f64 v[15:16], v[23:24], v[15:16]
	v_add_f64 v[15:16], v[15:16], -v[17:18]
	v_fma_f64 v[17:18], v[19:20], s[2:3], v[15:16]
	v_add_f64 v[15:16], v[32:33], v[17:18]
	v_add_f64 v[23:24], v[15:16], -v[32:33]
	v_add_f64 v[17:18], v[17:18], -v[23:24]
.LBB7_115:
	s_or_b32 exec_lo, exec_lo, s1
                                        ; implicit-def: $vgpr8
                                        ; implicit-def: $vgpr19_vgpr20
                                        ; implicit-def: $vgpr23_vgpr24
	s_and_saveexec_b32 s1, s0
	s_xor_b32 s0, exec_lo, s1
	s_cbranch_execz .LBB7_117
; %bb.116:
	v_cmp_le_f64_e64 vcc_lo, 0x7b000000, |v[11:12]|
	v_mov_b32_e32 v41, 0
	s_mov_b32 s2, 0x54442d18
	s_mov_b32 s3, 0x3ff921fb
	;; [unrolled: 1-line block ×4, first 2 shown]
	v_cndmask_b32_e32 v20, v31, v30, vcc_lo
	v_cndmask_b32_e32 v19, v11, v29, vcc_lo
	v_mul_f64 v[23:24], v[27:28], v[19:20]
	v_mul_f64 v[29:30], v[25:26], v[19:20]
	;; [unrolled: 1-line block ×3, first 2 shown]
	v_fma_f64 v[27:28], v[27:28], v[19:20], -v[23:24]
	v_fma_f64 v[25:26], v[25:26], v[19:20], -v[29:30]
	;; [unrolled: 1-line block ×3, first 2 shown]
	v_add_f64 v[31:32], v[29:30], v[27:28]
	v_add_f64 v[33:34], v[31:32], -v[29:30]
	v_add_f64 v[37:38], v[23:24], v[31:32]
	v_add_f64 v[35:36], v[31:32], -v[33:34]
	v_add_f64 v[27:28], v[27:28], -v[33:34]
	v_ldexp_f64 v[33:34], v[37:38], -2
	v_add_f64 v[23:24], v[37:38], -v[23:24]
	v_add_f64 v[29:30], v[29:30], -v[35:36]
	v_add_f64 v[35:36], v[39:40], v[25:26]
	v_cmp_neq_f64_e64 vcc_lo, 0x7ff00000, |v[33:34]|
	v_add_f64 v[23:24], v[31:32], -v[23:24]
	v_add_f64 v[27:28], v[27:28], v[29:30]
	v_fract_f64_e32 v[29:30], v[33:34]
	v_add_f64 v[31:32], v[35:36], v[27:28]
	v_ldexp_f64 v[29:30], v[29:30], 2
	v_add_f64 v[33:34], v[23:24], v[31:32]
	v_cndmask_b32_e32 v30, 0, v30, vcc_lo
	v_cndmask_b32_e32 v29, 0, v29, vcc_lo
	v_add_f64 v[37:38], v[33:34], v[29:30]
	v_add_f64 v[21:22], v[33:34], -v[23:24]
	v_cmp_gt_f64_e32 vcc_lo, 0, v[37:38]
	v_add_f64 v[37:38], v[35:36], -v[39:40]
	v_add_f64 v[21:22], v[31:32], -v[21:22]
	v_cndmask_b32_e64 v42, 0, 0x40100000, vcc_lo
	v_add_f64 v[46:47], v[35:36], -v[37:38]
	v_add_f64 v[25:26], v[25:26], -v[37:38]
	v_add_f64 v[29:30], v[29:30], v[41:42]
	v_add_f64 v[42:43], v[31:32], -v[35:36]
	v_add_f64 v[37:38], v[39:40], -v[46:47]
	v_add_f64 v[44:45], v[33:34], v[29:30]
	;; [unrolled: 3-line block ×3, first 2 shown]
	v_cvt_i32_f64_e32 v8, v[44:45]
	v_add_f64 v[35:36], v[35:36], -v[48:49]
	v_cvt_f64_i32_e32 v[42:43], v8
	v_add_f64 v[27:28], v[27:28], v[35:36]
	v_add_f64 v[29:30], v[29:30], -v[42:43]
	v_add_f64 v[23:24], v[25:26], v[27:28]
	v_add_f64 v[25:26], v[33:34], v[29:30]
	;; [unrolled: 1-line block ×3, first 2 shown]
	v_add_f64 v[23:24], v[25:26], -v[29:30]
	v_cmp_le_f64_e32 vcc_lo, 0.5, v[25:26]
	v_add_f64 v[19:20], v[21:22], v[19:20]
	v_add_f64 v[21:22], v[33:34], -v[23:24]
	v_cndmask_b32_e64 v42, 0, 0x3ff00000, vcc_lo
	v_add_co_ci_u32_e64 v8, null, 0, v8, vcc_lo
	v_add_f64 v[19:20], v[19:20], v[21:22]
	v_add_f64 v[21:22], v[25:26], -v[41:42]
	v_add_f64 v[23:24], v[21:22], v[19:20]
	v_mul_f64 v[25:26], v[23:24], s[2:3]
	v_add_f64 v[21:22], v[23:24], -v[21:22]
	v_fma_f64 v[27:28], v[23:24], s[2:3], -v[25:26]
	v_add_f64 v[19:20], v[19:20], -v[21:22]
	v_fma_f64 v[21:22], v[23:24], s[8:9], v[27:28]
	v_fma_f64 v[21:22], v[19:20], s[2:3], v[21:22]
	v_add_f64 v[19:20], v[25:26], v[21:22]
	v_add_f64 v[23:24], v[19:20], -v[25:26]
	v_add_f64 v[23:24], v[21:22], -v[23:24]
	s_andn2_saveexec_b32 s0, s0
	s_cbranch_execnz .LBB7_118
	s_branch .LBB7_119
.LBB7_117:
	s_andn2_saveexec_b32 s0, s0
	s_cbranch_execz .LBB7_119
.LBB7_118:
	s_mov_b32 s2, 0x6dc9c883
	s_mov_b32 s3, 0x3fe45f30
	;; [unrolled: 1-line block ×3, first 2 shown]
	v_mul_f64 v[19:20], |v[11:12]|, s[2:3]
	s_mov_b32 s2, 0x54442d18
	s_mov_b32 s3, 0xbff921fb
	;; [unrolled: 1-line block ×3, first 2 shown]
	v_rndne_f64_e32 v[21:22], v[19:20]
	v_fma_f64 v[19:20], v[21:22], s[2:3], |v[11:12]|
	v_mul_f64 v[23:24], v[21:22], s[8:9]
	s_mov_b32 s2, 0x252049c0
	s_mov_b32 s3, 0xb97b839a
	v_cvt_i32_f64_e32 v8, v[21:22]
	v_fma_f64 v[27:28], v[21:22], s[8:9], v[19:20]
	v_add_f64 v[25:26], v[19:20], v[23:24]
	s_mov_b32 s9, 0x3c91a626
	v_add_f64 v[19:20], v[19:20], -v[25:26]
	v_add_f64 v[25:26], v[25:26], -v[27:28]
	v_add_f64 v[19:20], v[19:20], v[23:24]
	v_fma_f64 v[23:24], v[21:22], s[8:9], v[23:24]
	v_add_f64 v[19:20], v[25:26], v[19:20]
	v_add_f64 v[19:20], v[19:20], -v[23:24]
	v_fma_f64 v[23:24], v[21:22], s[2:3], v[19:20]
	v_add_f64 v[19:20], v[27:28], v[23:24]
	v_add_f64 v[25:26], v[19:20], -v[27:28]
	v_add_f64 v[23:24], v[23:24], -v[25:26]
.LBB7_119:
	s_or_b32 exec_lo, exec_lo, s0
	v_div_scale_f64 v[21:22], null, v[13:14], v[13:14], 0x40140000
	v_div_scale_f64 v[29:30], vcc_lo, 0x40140000, v[13:14], 0x40140000
	s_mov_b32 s0, 0x6b70ba40
	s_mov_b32 s1, 0x3faa27fa
	;; [unrolled: 1-line block ×8, first 2 shown]
	v_mul_f64 v[37:38], v[19:20], v[19:20]
	v_mul_f64 v[49:50], v[15:16], v[15:16]
	s_mov_b32 s14, 0x9037ab78
	s_mov_b32 s16, 0x46cc5e42
	;; [unrolled: 1-line block ×6, first 2 shown]
	v_mul_f64 v[59:60], v[23:24], 0.5
	v_mul_f64 v[75:76], v[17:18], 0.5
	v_rcp_f64_e32 v[25:26], v[21:22]
	v_fma_f64 v[51:52], v[37:38], s[16:17], s[14:15]
	v_mul_f64 v[53:54], v[37:38], 0.5
	v_fma_f64 v[61:62], v[49:50], s[16:17], s[14:15]
	v_mul_f64 v[63:64], v[49:50], 0.5
	v_mul_f64 v[65:66], v[19:20], -v[37:38]
	v_mul_f64 v[77:78], v[15:16], -v[49:50]
	v_mul_f64 v[81:82], v[37:38], v[37:38]
	v_fma_f64 v[27:28], -v[21:22], v[25:26], 1.0
	v_fma_f64 v[25:26], v[25:26], v[27:28], v[25:26]
	v_fma_f64 v[27:28], -v[21:22], v[25:26], 1.0
	v_fma_f64 v[25:26], v[25:26], v[27:28], v[25:26]
	v_mul_f64 v[27:28], v[29:30], v[25:26]
	v_fma_f64 v[21:22], -v[21:22], v[27:28], v[29:30]
	v_div_fmas_f64 v[21:22], v[21:22], v[25:26], v[27:28]
	v_div_fixup_f64 v[21:22], v[21:22], v[13:14], 0x40140000
	v_mul_f64 v[25:26], v[21:22], v[21:22]
	v_fma_f64 v[27:28], v[25:26], 0, s[0:1]
	s_mov_b32 s0, 0x4c6c651b
	s_mov_b32 s1, 0x3f48f92c
	v_fma_f64 v[29:30], v[25:26], 0, s[2:3]
	v_fma_f64 v[31:32], v[25:26], 0, s[0:1]
	v_fma_f64 v[33:34], v[25:26], 0, s[10:11]
	s_mov_b32 s0, 0xa3fec4b6
	s_mov_b32 s2, 0x5948aa83
	s_mov_b32 s1, 0x3fb2b948
	s_mov_b32 s3, 0x3fb19fdd
	s_mov_b32 s10, 0xa20e5f6f
	s_mov_b32 s11, 0x409081cb
	v_fma_f64 v[27:28], v[25:26], v[27:28], s[8:9]
	s_mov_b32 s8, 0x9acf1c67
	s_mov_b32 s9, 0x4052f4b9
	v_fma_f64 v[29:30], v[25:26], v[29:30], s[2:3]
	v_fma_f64 v[31:32], v[25:26], v[31:32], s[0:1]
	v_fma_f64 v[33:34], v[25:26], v[33:34], s[10:11]
	s_mov_b32 s0, 0xc21596d6
	s_mov_b32 s2, 0xb850eed6
	s_mov_b32 s1, 0x3ff208fe
	s_mov_b32 s3, 0x3ff1aea9
	s_mov_b32 s10, 0x1bfdfe81
	s_mov_b32 s11, 0x40b37a69
	;; [unrolled: 12-line block ×6, first 2 shown]
	v_fma_f64 v[27:28], v[25:26], v[27:28], s[8:9]
	s_mov_b32 s8, 0xb42fdfa7
	s_mov_b32 s9, 0xbe5ae600
	v_fma_f64 v[29:30], v[25:26], v[29:30], 1.0
	v_fma_f64 v[31:32], v[25:26], v[31:32], 1.0
	v_fma_f64 v[33:34], v[25:26], v[33:34], s[2:3]
	v_fma_f64 v[43:44], v[37:38], s[10:11], s[8:9]
	s_mov_b32 s2, 0x796cde01
	s_mov_b32 s3, 0x3ec71de3
	v_fma_f64 v[25:26], v[25:26], v[27:28], s[0:1]
	v_cmp_gt_f64_e64 s0, 0x10000000, v[13:14]
	v_div_scale_f64 v[27:28], null, v[29:30], v[29:30], v[31:32]
	v_fma_f64 v[43:44], v[37:38], v[43:44], s[2:3]
	v_div_scale_f64 v[71:72], vcc_lo, v[31:32], v[29:30], v[31:32]
	v_div_scale_f64 v[35:36], null, v[33:34], v[33:34], v[25:26]
	v_rcp_f64_e32 v[39:40], v[27:28]
	v_fma_f64 v[43:44], v[37:38], v[43:44], s[18:19]
	v_rcp_f64_e32 v[41:42], v[35:36]
	v_fma_f64 v[45:46], -v[27:28], v[39:40], 1.0
	v_fma_f64 v[47:48], -v[35:36], v[41:42], 1.0
	v_fma_f64 v[39:40], v[39:40], v[45:46], v[39:40]
	v_fma_f64 v[45:46], v[49:50], s[10:11], s[8:9]
	s_mov_b32 s8, 0xa17f65f6
	s_mov_b32 s9, 0xbe927e4f
	;; [unrolled: 1-line block ×4, first 2 shown]
	v_fma_f64 v[43:44], v[37:38], v[43:44], s[10:11]
	v_fma_f64 v[41:42], v[41:42], v[47:48], v[41:42]
	v_cndmask_b32_e64 v47, 0, 0x100, s0
	v_fma_f64 v[55:56], -v[27:28], v[39:40], 1.0
	v_fma_f64 v[45:46], v[49:50], v[45:46], s[2:3]
	v_ldexp_f64 v[13:14], v[13:14], v47
	v_fma_f64 v[47:48], v[37:38], v[51:52], s[8:9]
	v_add_f64 v[51:52], -v[53:54], 1.0
	s_mov_b32 s2, 0x19f4ec90
	s_mov_b32 s3, 0x3efa01a0
	v_fma_f64 v[43:44], v[65:66], v[43:44], v[59:60]
	v_fma_f64 v[57:58], -v[35:36], v[41:42], 1.0
	v_fma_f64 v[39:40], v[39:40], v[55:56], v[39:40]
	v_div_scale_f64 v[55:56], s1, v[25:26], v[33:34], v[25:26]
	v_rsq_f64_e32 v[67:68], v[13:14]
	v_fma_f64 v[47:48], v[37:38], v[47:48], s[2:3]
	v_add_f64 v[69:70], -v[51:52], 1.0
	v_fma_f64 v[45:46], v[49:50], v[45:46], s[18:19]
	v_fma_f64 v[43:44], v[37:38], v[43:44], -v[23:24]
	v_fma_f64 v[41:42], v[41:42], v[57:58], v[41:42]
	v_fma_f64 v[57:58], v[49:50], v[61:62], s[8:9]
	v_add_f64 v[61:62], -v[63:64], 1.0
	s_mov_b32 s8, 0x16c16967
	s_mov_b32 s9, 0xbf56c16c
	v_fma_f64 v[47:48], v[37:38], v[47:48], s[8:9]
	v_mul_f64 v[59:60], v[13:14], v[67:68]
	v_mul_f64 v[67:68], v[67:68], 0.5
	v_add_f64 v[53:54], v[69:70], -v[53:54]
	v_mul_f64 v[69:70], v[71:72], v[39:40]
	v_fma_f64 v[45:46], v[49:50], v[45:46], s[10:11]
	s_mov_b32 s11, 0xbfc55555
	v_mul_f64 v[73:74], v[55:56], v[41:42]
	v_fma_f64 v[57:58], v[49:50], v[57:58], s[2:3]
	v_add_f64 v[79:80], -v[61:62], 1.0
	s_mov_b32 s2, 0x55555555
	s_mov_b32 s3, 0x3fa55555
	;; [unrolled: 1-line block ×3, first 2 shown]
	v_fma_f64 v[43:44], v[65:66], s[10:11], v[43:44]
	v_fma_f64 v[37:38], v[37:38], v[47:48], s[2:3]
	v_fma_f64 v[83:84], -v[67:68], v[59:60], 0.5
	v_fma_f64 v[23:24], v[19:20], -v[23:24], v[53:54]
	v_fma_f64 v[27:28], -v[27:28], v[69:70], v[71:72]
	v_fma_f64 v[45:46], v[77:78], v[45:46], v[75:76]
	v_fma_f64 v[35:36], -v[35:36], v[73:74], v[55:56]
	v_fma_f64 v[47:48], v[49:50], v[57:58], s[8:9]
	v_add_f64 v[53:54], v[79:80], -v[63:64]
	v_add_f64 v[19:20], v[19:20], -v[43:44]
	v_fma_f64 v[55:56], v[59:60], v[83:84], v[59:60]
	v_fma_f64 v[23:24], v[81:82], v[37:38], v[23:24]
	v_div_fmas_f64 v[27:28], v[27:28], v[39:40], v[69:70]
	s_mov_b32 vcc_lo, s1
	v_mul_f64 v[37:38], v[49:50], v[49:50]
	v_fma_f64 v[43:44], v[67:68], v[83:84], v[67:68]
	v_div_fmas_f64 v[35:36], v[35:36], v[41:42], v[73:74]
	v_fma_f64 v[39:40], v[49:50], v[47:48], s[2:3]
	v_fma_f64 v[41:42], v[15:16], -v[17:18], v[53:54]
	v_fma_f64 v[17:18], v[49:50], v[45:46], -v[17:18]
	v_xor_b32_e32 v20, 0x80000000, v20
	v_fma_f64 v[45:46], -v[55:56], v[55:56], v[13:14]
	v_add_f64 v[23:24], v[51:52], v[23:24]
	v_div_fixup_f64 v[25:26], v[35:36], v[33:34], v[25:26]
	v_and_b32_e32 v35, 1, v8
	v_fma_f64 v[33:34], v[37:38], v[39:40], v[41:42]
	v_fma_f64 v[17:18], v[77:78], s[10:11], v[17:18]
	v_lshlrev_b32_e32 v8, 30, v8
	v_cmp_eq_u32_e32 vcc_lo, 0, v35
	v_and_b32_e32 v8, 0x80000000, v8
	v_fma_f64 v[35:36], v[45:46], v[43:44], v[55:56]
	v_cndmask_b32_e32 v24, v20, v24, vcc_lo
	v_cndmask_b32_e32 v23, v19, v23, vcc_lo
	v_cmp_class_f64_e64 vcc_lo, v[11:12], 0x1f8
	v_lshlrev_b32_e32 v11, 30, v4
	v_and_b32_e32 v4, 1, v4
	v_xor_b32_e32 v8, v24, v8
	v_cmp_eq_u32_e64 s1, 0, v4
	v_mul_f64 v[19:20], v[21:22], v[25:26]
	v_add_f64 v[21:22], v[61:62], v[33:34]
	v_add_f64 v[15:16], v[15:16], -v[17:18]
	v_fma_f64 v[17:18], -v[35:36], v[35:36], v[13:14]
	v_cndmask_b32_e32 v23, 0, v23, vcc_lo
	v_cndmask_b32_e32 v24, 0x7ff80000, v8, vcc_lo
	v_xor_b32_e32 v8, v11, v12
	v_div_fixup_f64 v[11:12], v[27:28], v[29:30], v[31:32]
	v_and_b32_e32 v8, 0x80000000, v8
	v_mul_f64 v[19:20], v[19:20], v[23:24]
	v_cndmask_b32_e64 v4, v22, v16, s1
	v_cndmask_b32_e64 v21, v21, v15, s1
	v_xor_b32_e32 v4, v4, v8
	v_fma_f64 v[15:16], v[17:18], v[43:44], v[35:36]
	v_cndmask_b32_e32 v17, 0, v21, vcc_lo
	v_cndmask_b32_e32 v18, 0x7ff80000, v4, vcc_lo
	v_cndmask_b32_e64 v4, 0, 0xffffff80, s0
	v_cmp_class_f64_e64 vcc_lo, v[13:14], 0x260
	s_mov_b32 s0, 0x33d43651
	s_mov_b32 s1, 0x3fe98845
	v_fma_f64 v[11:12], v[11:12], v[17:18], v[19:20]
	v_ldexp_f64 v[15:16], v[15:16], v4
	v_mul_f64 v[11:12], v[11:12], s[0:1]
	v_cndmask_b32_e32 v14, v16, v14, vcc_lo
	v_cndmask_b32_e32 v13, v15, v13, vcc_lo
	v_div_scale_f64 v[15:16], null, v[13:14], v[13:14], v[11:12]
	v_rcp_f64_e32 v[17:18], v[15:16]
	v_fma_f64 v[19:20], -v[15:16], v[17:18], 1.0
	v_fma_f64 v[17:18], v[17:18], v[19:20], v[17:18]
	v_fma_f64 v[19:20], -v[15:16], v[17:18], 1.0
	v_fma_f64 v[17:18], v[17:18], v[19:20], v[17:18]
	v_div_scale_f64 v[19:20], vcc_lo, v[11:12], v[13:14], v[11:12]
	v_mul_f64 v[21:22], v[19:20], v[17:18]
	v_fma_f64 v[15:16], -v[15:16], v[21:22], v[19:20]
	v_div_fmas_f64 v[15:16], v[15:16], v[17:18], v[21:22]
	v_div_fixup_f64 v[11:12], v[15:16], v[13:14], v[11:12]
.LBB7_120:
	s_or_b32 exec_lo, exec_lo, s12
	global_load_dwordx2 v[4:5], v5, s[6:7]
                                        ; implicit-def: $vgpr13_vgpr14
	s_mov_b32 s0, exec_lo
	s_waitcnt vmcnt(0)
	v_cmpx_ge_f64_e32 0x40140000, v[4:5]
	s_xor_b32 s2, exec_lo, s0
	s_cbranch_execz .LBB7_126
; %bb.121:
	v_mov_b32_e32 v13, 0
	v_mov_b32_e32 v14, 0xfff00000
	s_mov_b32 s3, exec_lo
	v_cmpx_neq_f64_e32 0, v[4:5]
	s_cbranch_execz .LBB7_125
; %bb.122:
	v_mov_b32_e32 v13, 0
	v_mov_b32_e32 v14, 0x7ff80000
	s_mov_b32 s6, exec_lo
	v_cmpx_nge_f64_e32 0, v[4:5]
	s_cbranch_execz .LBB7_124
; %bb.123:
	v_frexp_mant_f64_e32 v[13:14], v[4:5]
	s_mov_b32 s1, 0x3fe55555
	s_mov_b32 s0, 0x55555555
	;; [unrolled: 1-line block ×10, first 2 shown]
	v_cmp_gt_f64_e32 vcc_lo, s[0:1], v[13:14]
	s_mov_b32 s0, 0x55555780
	v_cndmask_b32_e64 v8, 0, 1, vcc_lo
	v_ldexp_f64 v[13:14], v[13:14], v8
	v_frexp_exp_i32_f64_e32 v8, v[4:5]
	v_add_f64 v[15:16], v[13:14], 1.0
	v_add_f64 v[21:22], v[13:14], -1.0
	v_subrev_co_ci_u32_e64 v8, null, 0, v8, vcc_lo
	v_rcp_f64_e32 v[17:18], v[15:16]
	v_add_f64 v[23:24], v[15:16], -1.0
	v_add_f64 v[13:14], v[13:14], -v[23:24]
	v_fma_f64 v[19:20], -v[15:16], v[17:18], 1.0
	v_fma_f64 v[17:18], v[19:20], v[17:18], v[17:18]
	v_fma_f64 v[19:20], -v[15:16], v[17:18], 1.0
	v_fma_f64 v[17:18], v[19:20], v[17:18], v[17:18]
	v_mul_f64 v[19:20], v[21:22], v[17:18]
	v_mul_f64 v[25:26], v[15:16], v[19:20]
	v_fma_f64 v[15:16], v[19:20], v[15:16], -v[25:26]
	v_fma_f64 v[13:14], v[19:20], v[13:14], v[15:16]
	v_add_f64 v[15:16], v[25:26], v[13:14]
	v_add_f64 v[23:24], v[21:22], -v[15:16]
	v_add_f64 v[25:26], v[15:16], -v[25:26]
	;; [unrolled: 1-line block ×5, first 2 shown]
	v_add_f64 v[13:14], v[13:14], v[15:16]
	v_add_f64 v[13:14], v[23:24], v[13:14]
	v_mul_f64 v[23:24], v[4:5], v[4:5]
	v_mul_f64 v[13:14], v[17:18], v[13:14]
	v_add_f64 v[15:16], v[19:20], v[13:14]
	v_mul_f64 v[17:18], v[15:16], v[15:16]
	v_ldexp_f64 v[33:34], v[15:16], 1
	v_fma_f64 v[21:22], v[17:18], s[10:11], s[8:9]
	s_mov_b32 s8, 0xd7f4df2e
	s_mov_b32 s9, 0x3fc7474d
	;; [unrolled: 1-line block ×4, first 2 shown]
	v_mul_f64 v[31:32], v[15:16], v[17:18]
	v_fma_f64 v[27:28], v[23:24], 0, s[10:11]
	s_mov_b32 s10, 0xdd701b2
	s_mov_b32 s11, 0x410f5eda
	v_add_f64 v[15:16], v[15:16], -v[19:20]
	v_fma_f64 v[21:22], v[17:18], v[21:22], s[8:9]
	s_mov_b32 s8, 0xa93f7ac2
	s_mov_b32 s9, 0x40829269
	v_fma_f64 v[25:26], v[23:24], 0, s[8:9]
	s_mov_b32 s8, 0x16291751
	s_mov_b32 s9, 0x3fcc71c0
	;; [unrolled: 3-line block ×3, first 2 shown]
	v_add_f64 v[13:14], v[13:14], -v[15:16]
	v_fma_f64 v[21:22], v[17:18], v[21:22], s[8:9]
	s_mov_b32 s8, 0xbe58ef7f
	s_mov_b32 s9, 0x410cc160
	v_fma_f64 v[25:26], v[23:24], v[25:26], s[8:9]
	s_mov_b32 s8, 0x9b27acf1
	s_mov_b32 s9, 0x3fd24924
	;; [unrolled: 3-line block ×3, first 2 shown]
	v_ldexp_f64 v[13:14], v[13:14], 1
	v_fma_f64 v[21:22], v[17:18], v[21:22], s[8:9]
	s_mov_b32 s8, 0x62f9b6c5
	s_mov_b32 s9, 0x41d2d2be
	v_fma_f64 v[29:30], v[23:24], 0, s[8:9]
	v_fma_f64 v[25:26], v[23:24], v[25:26], s[10:11]
	s_mov_b32 s8, 0x998ef7b6
	s_mov_b32 s9, 0x3fd99999
	;; [unrolled: 1-line block ×4, first 2 shown]
	v_fma_f64 v[27:28], v[23:24], v[27:28], s[12:13]
	s_mov_b32 s12, 0x8076ffa8
	s_mov_b32 s13, 0x429146fb
	v_fma_f64 v[21:22], v[17:18], v[21:22], s[8:9]
	s_mov_b32 s8, 0x58836521
	s_mov_b32 s9, 0xc262d72d
	v_fma_f64 v[29:30], v[23:24], v[29:30], s[8:9]
	v_fma_f64 v[25:26], v[23:24], v[25:26], s[10:11]
	s_mov_b32 s8, 0xfda99316
	s_mov_b32 s10, 0x4cda4fc5
	s_mov_b32 s9, 0x428c3f5e
	s_mov_b32 s11, 0xc1cad23c
	v_fma_f64 v[27:28], v[23:24], v[27:28], s[12:13]
	s_mov_b32 s12, 0x3eccf45f
	s_mov_b32 s13, 0x43064b0a
	v_fma_f64 v[17:18], v[17:18], v[21:22], s[0:1]
	s_mov_b32 s0, 0xb0910fef
	s_mov_b32 s1, 0x42da0954
	v_fma_f64 v[21:22], v[23:24], v[29:30], s[0:1]
	v_fma_f64 v[25:26], v[23:24], v[25:26], s[8:9]
	;; [unrolled: 1-line block ×3, first 2 shown]
	s_mov_b32 s0, 0x37a1b083
	s_mov_b32 s8, 0xd71d1e4e
	;; [unrolled: 1-line block ×6, first 2 shown]
	v_fma_f64 v[27:28], v[23:24], v[27:28], s[12:13]
	s_mov_b32 s12, 0xf4653f81
	s_mov_b32 s13, 0x4373e0bf
	v_mul_f64 v[17:18], v[31:32], v[17:18]
	v_cvt_f64_i32_e32 v[31:32], v8
	v_fma_f64 v[21:22], v[23:24], v[21:22], s[0:1]
	v_fma_f64 v[25:26], v[23:24], v[25:26], s[8:9]
	;; [unrolled: 1-line block ×3, first 2 shown]
	s_mov_b32 s0, 0xb7366b1
	s_mov_b32 s8, 0xc547a488
	s_mov_b32 s10, 0xe6ccf175
	s_mov_b32 s1, 0x438679ad
	s_mov_b32 s9, 0x436e83e3
	s_mov_b32 s11, 0xc2d08a92
	v_fma_f64 v[27:28], v[23:24], v[27:28], s[12:13]
	s_mov_b32 s12, 0xa697c482
	s_mov_b32 s13, 0x432a2b42
	v_add_f64 v[19:20], v[33:34], v[17:18]
	v_mul_f64 v[35:36], v[31:32], s[14:15]
	v_fma_f64 v[21:22], v[23:24], v[21:22], s[0:1]
	v_fma_f64 v[25:26], v[23:24], v[25:26], s[8:9]
	;; [unrolled: 1-line block ×3, first 2 shown]
	s_mov_b32 s0, 0x90f6747f
	s_mov_b32 s8, 0x5dde2b17
	;; [unrolled: 1-line block ×6, first 2 shown]
	v_add_f64 v[15:16], v[19:20], -v[33:34]
	v_fma_f64 v[21:22], v[23:24], v[21:22], s[8:9]
	v_fma_f64 v[25:26], v[23:24], v[25:26], s[0:1]
	;; [unrolled: 1-line block ×4, first 2 shown]
	v_fma_f64 v[27:28], v[31:32], s[14:15], -v[35:36]
	s_mov_b32 s0, 0x3b39803f
	s_mov_b32 s1, 0x3c7abc9e
	v_add_f64 v[15:16], v[17:18], -v[15:16]
	v_div_scale_f64 v[17:18], null, v[25:26], v[25:26], v[21:22]
	v_div_scale_f64 v[33:34], null, v[23:24], v[23:24], v[29:30]
	v_fma_f64 v[27:28], v[31:32], s[0:1], v[27:28]
	v_add_f64 v[13:14], v[13:14], v[15:16]
	v_rcp_f64_e32 v[15:16], v[17:18]
	v_rcp_f64_e32 v[31:32], v[33:34]
	v_add_f64 v[37:38], v[35:36], v[27:28]
	v_add_f64 v[39:40], v[19:20], v[13:14]
	v_fma_f64 v[41:42], -v[17:18], v[15:16], 1.0
	v_fma_f64 v[43:44], -v[33:34], v[31:32], 1.0
	v_add_f64 v[35:36], v[37:38], -v[35:36]
	v_add_f64 v[45:46], v[37:38], v[39:40]
	v_add_f64 v[19:20], v[39:40], -v[19:20]
	v_fma_f64 v[15:16], v[15:16], v[41:42], v[15:16]
	v_fma_f64 v[31:32], v[31:32], v[43:44], v[31:32]
	v_div_scale_f64 v[43:44], null, v[4:5], v[4:5], -1.0
	v_add_f64 v[27:28], v[27:28], -v[35:36]
	v_div_scale_f64 v[35:36], vcc_lo, v[21:22], v[25:26], v[21:22]
	v_add_f64 v[41:42], v[45:46], -v[37:38]
	v_add_f64 v[13:14], v[13:14], -v[19:20]
	v_fma_f64 v[47:48], -v[17:18], v[15:16], 1.0
	v_fma_f64 v[49:50], -v[33:34], v[31:32], 1.0
	v_rcp_f64_e32 v[53:54], v[43:44]
	v_add_f64 v[51:52], v[45:46], -v[41:42]
	v_add_f64 v[19:20], v[39:40], -v[41:42]
	v_fma_f64 v[15:16], v[15:16], v[47:48], v[15:16]
	v_div_scale_f64 v[47:48], s0, v[29:30], v[23:24], v[29:30]
	v_fma_f64 v[31:32], v[31:32], v[49:50], v[31:32]
	v_fma_f64 v[39:40], -v[43:44], v[53:54], 1.0
	v_add_f64 v[37:38], v[37:38], -v[51:52]
	v_add_f64 v[51:52], v[27:28], v[13:14]
	v_mul_f64 v[41:42], v[35:36], v[15:16]
	v_mul_f64 v[49:50], v[47:48], v[31:32]
	v_add_f64 v[19:20], v[19:20], v[37:38]
	v_fma_f64 v[37:38], v[53:54], v[39:40], v[53:54]
	v_fma_f64 v[17:18], -v[17:18], v[41:42], v[35:36]
	v_add_f64 v[35:36], v[51:52], -v[27:28]
	v_fma_f64 v[33:34], -v[33:34], v[49:50], v[47:48]
	v_add_f64 v[19:20], v[51:52], v[19:20]
	v_fma_f64 v[39:40], -v[43:44], v[37:38], 1.0
	v_div_fmas_f64 v[15:16], v[17:18], v[15:16], v[41:42]
	s_mov_b32 vcc_lo, s0
	v_add_f64 v[13:14], v[13:14], -v[35:36]
	v_div_fmas_f64 v[17:18], v[33:34], v[31:32], v[49:50]
	v_add_f64 v[31:32], v[51:52], -v[35:36]
	v_div_scale_f64 v[41:42], vcc_lo, -1.0, v[4:5], -1.0
	s_mov_b32 s0, 0x4189822c
	s_mov_b32 s1, 0xc02d5d2b
	v_add_f64 v[33:34], v[45:46], v[19:20]
	v_fma_f64 v[37:38], v[37:38], v[39:40], v[37:38]
	v_div_fixup_f64 v[15:16], v[15:16], v[25:26], v[21:22]
	v_div_fixup_f64 v[17:18], v[17:18], v[23:24], v[29:30]
	v_add_f64 v[23:24], v[27:28], -v[31:32]
	v_fma_f64 v[31:32], v[4:5], v[4:5], s[0:1]
	s_mov_b32 s0, 0x6072a432
	s_mov_b32 s1, 0xc0489bf6
	v_add_f64 v[27:28], v[33:34], -v[45:46]
	v_mul_f64 v[29:30], v[41:42], v[37:38]
	v_mul_f64 v[17:18], v[4:5], v[17:18]
	v_add_f64 v[13:14], v[13:14], v[23:24]
	v_add_f64 v[19:20], v[19:20], -v[27:28]
	v_fma_f64 v[23:24], -v[43:44], v[29:30], v[41:42]
	v_fma_f64 v[27:28], v[4:5], v[4:5], s[0:1]
	s_mov_b32 s0, 0x6dc9c883
	s_mov_b32 s1, 0x3fe45f30
	v_mul_f64 v[17:18], v[31:32], v[17:18]
	v_add_f64 v[13:14], v[13:14], v[19:20]
	v_div_fmas_f64 v[19:20], v[23:24], v[37:38], v[29:30]
	v_mul_f64 v[17:18], v[27:28], v[17:18]
	v_add_f64 v[13:14], v[33:34], v[13:14]
	v_div_fixup_f64 v[19:20], v[19:20], v[4:5], -1.0
	v_fma_f64 v[13:14], v[17:18], v[13:14], v[19:20]
	v_mul_f64 v[13:14], v[13:14], s[0:1]
	v_fma_f64 v[13:14], v[4:5], v[15:16], v[13:14]
.LBB7_124:
	s_or_b32 exec_lo, exec_lo, s6
.LBB7_125:
	s_or_b32 exec_lo, exec_lo, s3
                                        ; implicit-def: $vgpr4_vgpr5
.LBB7_126:
	s_andn2_saveexec_b32 s10, s2
	s_cbranch_execz .LBB7_136
; %bb.127:
	s_mov_b32 s0, 0x7f3321d2
	s_mov_b32 s1, 0xc002d97c
                                        ; implicit-def: $vgpr8
                                        ; implicit-def: $vgpr15_vgpr16
                                        ; implicit-def: $vgpr17_vgpr18
	v_add_f64 v[13:14], v[4:5], s[0:1]
	v_cmp_ngt_f64_e64 s0, 0x41d00000, |v[13:14]|
	v_trig_preop_f64 v[27:28], |v[13:14]|, 0
	v_trig_preop_f64 v[25:26], |v[13:14]|, 1
	v_ldexp_f64 v[29:30], |v[13:14]|, 0xffffff80
	v_trig_preop_f64 v[21:22], |v[13:14]|, 2
	v_and_b32_e32 v32, 0x7fffffff, v14
	s_and_saveexec_b32 s1, s0
	s_xor_b32 s1, exec_lo, s1
	s_cbranch_execz .LBB7_129
; %bb.128:
	v_cmp_le_f64_e64 vcc_lo, 0x7b000000, |v[13:14]|
	v_mov_b32_e32 v45, 0
	s_mov_b32 s2, 0x54442d18
	s_mov_b32 s3, 0x3ff921fb
	;; [unrolled: 1-line block ×4, first 2 shown]
	v_cndmask_b32_e32 v16, v32, v30, vcc_lo
	v_cndmask_b32_e32 v15, v13, v29, vcc_lo
	v_mul_f64 v[17:18], v[27:28], v[15:16]
	v_mul_f64 v[19:20], v[25:26], v[15:16]
	v_mul_f64 v[41:42], v[21:22], v[15:16]
	v_fma_f64 v[23:24], v[27:28], v[15:16], -v[17:18]
	v_fma_f64 v[43:44], v[25:26], v[15:16], -v[19:20]
	;; [unrolled: 1-line block ×3, first 2 shown]
	v_add_f64 v[33:34], v[19:20], v[23:24]
	v_add_f64 v[35:36], v[33:34], -v[19:20]
	v_add_f64 v[39:40], v[17:18], v[33:34]
	v_add_f64 v[37:38], v[33:34], -v[35:36]
	v_add_f64 v[23:24], v[23:24], -v[35:36]
	v_ldexp_f64 v[35:36], v[39:40], -2
	v_add_f64 v[17:18], v[39:40], -v[17:18]
	v_add_f64 v[19:20], v[19:20], -v[37:38]
	v_add_f64 v[37:38], v[41:42], v[43:44]
	v_cmp_neq_f64_e64 vcc_lo, 0x7ff00000, |v[35:36]|
	v_add_f64 v[17:18], v[33:34], -v[17:18]
	v_add_f64 v[19:20], v[23:24], v[19:20]
	v_fract_f64_e32 v[23:24], v[35:36]
	v_add_f64 v[33:34], v[37:38], v[19:20]
	v_ldexp_f64 v[23:24], v[23:24], 2
	v_add_f64 v[35:36], v[17:18], v[33:34]
	v_cndmask_b32_e32 v24, 0, v24, vcc_lo
	v_cndmask_b32_e32 v23, 0, v23, vcc_lo
	v_add_f64 v[39:40], v[35:36], v[23:24]
	v_add_f64 v[17:18], v[35:36], -v[17:18]
	v_cmp_gt_f64_e32 vcc_lo, 0, v[39:40]
	v_add_f64 v[39:40], v[37:38], -v[41:42]
	v_add_f64 v[17:18], v[33:34], -v[17:18]
	v_cndmask_b32_e64 v46, 0, 0x40100000, vcc_lo
	v_add_f64 v[50:51], v[37:38], -v[39:40]
	v_add_f64 v[39:40], v[43:44], -v[39:40]
	v_add_f64 v[23:24], v[23:24], v[45:46]
	v_add_f64 v[46:47], v[33:34], -v[37:38]
	v_add_f64 v[43:44], v[41:42], -v[50:51]
	v_add_f64 v[48:49], v[35:36], v[23:24]
	;; [unrolled: 3-line block ×3, first 2 shown]
	v_cvt_i32_f64_e32 v8, v[48:49]
	v_add_f64 v[37:38], v[37:38], -v[52:53]
	v_cvt_f64_i32_e32 v[46:47], v8
	v_add_f64 v[19:20], v[19:20], v[37:38]
	v_add_f64 v[23:24], v[23:24], -v[46:47]
	v_add_f64 v[19:20], v[39:40], v[19:20]
	v_add_f64 v[37:38], v[35:36], v[23:24]
	;; [unrolled: 1-line block ×3, first 2 shown]
	v_add_f64 v[19:20], v[37:38], -v[23:24]
	v_cmp_le_f64_e32 vcc_lo, 0.5, v[37:38]
	v_add_f64 v[15:16], v[17:18], v[15:16]
	v_add_f64 v[17:18], v[35:36], -v[19:20]
	v_cndmask_b32_e64 v46, 0, 0x3ff00000, vcc_lo
	v_add_co_ci_u32_e64 v8, null, 0, v8, vcc_lo
	v_add_f64 v[15:16], v[15:16], v[17:18]
	v_add_f64 v[17:18], v[37:38], -v[45:46]
	v_add_f64 v[19:20], v[17:18], v[15:16]
	v_mul_f64 v[23:24], v[19:20], s[2:3]
	v_add_f64 v[17:18], v[19:20], -v[17:18]
	v_fma_f64 v[33:34], v[19:20], s[2:3], -v[23:24]
	v_add_f64 v[15:16], v[15:16], -v[17:18]
	v_fma_f64 v[17:18], v[19:20], s[6:7], v[33:34]
	v_fma_f64 v[17:18], v[15:16], s[2:3], v[17:18]
	v_add_f64 v[15:16], v[23:24], v[17:18]
	v_add_f64 v[19:20], v[15:16], -v[23:24]
	v_add_f64 v[17:18], v[17:18], -v[19:20]
	s_andn2_saveexec_b32 s1, s1
	s_cbranch_execz .LBB7_131
	s_branch .LBB7_130
.LBB7_129:
	s_andn2_saveexec_b32 s1, s1
	s_cbranch_execz .LBB7_131
.LBB7_130:
	s_mov_b32 s2, 0x6dc9c883
	s_mov_b32 s3, 0x3fe45f30
	;; [unrolled: 1-line block ×3, first 2 shown]
	v_mul_f64 v[15:16], |v[13:14]|, s[2:3]
	s_mov_b32 s2, 0x54442d18
	s_mov_b32 s3, 0xbff921fb
	s_mov_b32 s6, 0x33145c00
	v_rndne_f64_e32 v[19:20], v[15:16]
	v_fma_f64 v[15:16], v[19:20], s[2:3], |v[13:14]|
	v_mul_f64 v[17:18], v[19:20], s[6:7]
	s_mov_b32 s2, 0x252049c0
	s_mov_b32 s3, 0xb97b839a
	v_cvt_i32_f64_e32 v8, v[19:20]
	v_fma_f64 v[33:34], v[19:20], s[6:7], v[15:16]
	v_add_f64 v[23:24], v[15:16], v[17:18]
	s_mov_b32 s7, 0x3c91a626
	v_add_f64 v[15:16], v[15:16], -v[23:24]
	v_add_f64 v[23:24], v[23:24], -v[33:34]
	v_add_f64 v[15:16], v[15:16], v[17:18]
	v_fma_f64 v[17:18], v[19:20], s[6:7], v[17:18]
	v_add_f64 v[15:16], v[23:24], v[15:16]
	v_add_f64 v[15:16], v[15:16], -v[17:18]
	v_fma_f64 v[17:18], v[19:20], s[2:3], v[15:16]
	v_add_f64 v[15:16], v[33:34], v[17:18]
	v_add_f64 v[23:24], v[15:16], -v[33:34]
	v_add_f64 v[17:18], v[17:18], -v[23:24]
.LBB7_131:
	s_or_b32 exec_lo, exec_lo, s1
                                        ; implicit-def: $vgpr31
                                        ; implicit-def: $vgpr19_vgpr20
                                        ; implicit-def: $vgpr23_vgpr24
	s_and_saveexec_b32 s1, s0
	s_xor_b32 s0, exec_lo, s1
	s_cbranch_execz .LBB7_133
; %bb.132:
	v_cmp_le_f64_e64 vcc_lo, 0x7b000000, |v[13:14]|
	v_mov_b32_e32 v41, 0
	s_mov_b32 s2, 0x54442d18
	s_mov_b32 s3, 0x3ff921fb
	;; [unrolled: 1-line block ×4, first 2 shown]
	v_cndmask_b32_e32 v20, v32, v30, vcc_lo
	v_cndmask_b32_e32 v19, v13, v29, vcc_lo
	v_mul_f64 v[23:24], v[27:28], v[19:20]
	v_mul_f64 v[29:30], v[25:26], v[19:20]
	;; [unrolled: 1-line block ×3, first 2 shown]
	v_fma_f64 v[27:28], v[27:28], v[19:20], -v[23:24]
	v_fma_f64 v[25:26], v[25:26], v[19:20], -v[29:30]
	;; [unrolled: 1-line block ×3, first 2 shown]
	v_add_f64 v[31:32], v[29:30], v[27:28]
	v_add_f64 v[33:34], v[31:32], -v[29:30]
	v_add_f64 v[37:38], v[23:24], v[31:32]
	v_add_f64 v[35:36], v[31:32], -v[33:34]
	v_add_f64 v[27:28], v[27:28], -v[33:34]
	v_ldexp_f64 v[33:34], v[37:38], -2
	v_add_f64 v[23:24], v[37:38], -v[23:24]
	v_add_f64 v[29:30], v[29:30], -v[35:36]
	v_add_f64 v[35:36], v[39:40], v[25:26]
	v_cmp_neq_f64_e64 vcc_lo, 0x7ff00000, |v[33:34]|
	v_add_f64 v[23:24], v[31:32], -v[23:24]
	v_add_f64 v[27:28], v[27:28], v[29:30]
	v_fract_f64_e32 v[29:30], v[33:34]
	v_add_f64 v[31:32], v[35:36], v[27:28]
	v_ldexp_f64 v[29:30], v[29:30], 2
	v_add_f64 v[33:34], v[23:24], v[31:32]
	v_cndmask_b32_e32 v30, 0, v30, vcc_lo
	v_cndmask_b32_e32 v29, 0, v29, vcc_lo
	v_add_f64 v[37:38], v[33:34], v[29:30]
	v_add_f64 v[21:22], v[33:34], -v[23:24]
	v_cmp_gt_f64_e32 vcc_lo, 0, v[37:38]
	v_add_f64 v[37:38], v[35:36], -v[39:40]
	v_add_f64 v[21:22], v[31:32], -v[21:22]
	v_cndmask_b32_e64 v42, 0, 0x40100000, vcc_lo
	v_add_f64 v[46:47], v[35:36], -v[37:38]
	v_add_f64 v[25:26], v[25:26], -v[37:38]
	v_add_f64 v[29:30], v[29:30], v[41:42]
	v_add_f64 v[42:43], v[31:32], -v[35:36]
	v_add_f64 v[37:38], v[39:40], -v[46:47]
	v_add_f64 v[44:45], v[33:34], v[29:30]
	;; [unrolled: 3-line block ×3, first 2 shown]
	v_cvt_i32_f64_e32 v44, v[44:45]
	v_add_f64 v[35:36], v[35:36], -v[48:49]
	v_cvt_f64_i32_e32 v[42:43], v44
	v_add_f64 v[27:28], v[27:28], v[35:36]
	v_add_f64 v[29:30], v[29:30], -v[42:43]
	v_add_f64 v[23:24], v[25:26], v[27:28]
	v_add_f64 v[25:26], v[33:34], v[29:30]
	;; [unrolled: 1-line block ×3, first 2 shown]
	v_add_f64 v[23:24], v[25:26], -v[29:30]
	v_cmp_le_f64_e32 vcc_lo, 0.5, v[25:26]
	v_add_f64 v[19:20], v[21:22], v[19:20]
	v_add_f64 v[21:22], v[33:34], -v[23:24]
	v_cndmask_b32_e64 v42, 0, 0x3ff00000, vcc_lo
	v_add_co_ci_u32_e64 v31, null, 0, v44, vcc_lo
	v_add_f64 v[19:20], v[19:20], v[21:22]
	v_add_f64 v[21:22], v[25:26], -v[41:42]
	v_add_f64 v[23:24], v[21:22], v[19:20]
	v_mul_f64 v[25:26], v[23:24], s[2:3]
	v_add_f64 v[21:22], v[23:24], -v[21:22]
	v_fma_f64 v[27:28], v[23:24], s[2:3], -v[25:26]
	v_add_f64 v[19:20], v[19:20], -v[21:22]
	v_fma_f64 v[21:22], v[23:24], s[6:7], v[27:28]
	v_fma_f64 v[21:22], v[19:20], s[2:3], v[21:22]
	v_add_f64 v[19:20], v[25:26], v[21:22]
	v_add_f64 v[23:24], v[19:20], -v[25:26]
	v_add_f64 v[23:24], v[21:22], -v[23:24]
	s_andn2_saveexec_b32 s0, s0
	s_cbranch_execnz .LBB7_134
	s_branch .LBB7_135
.LBB7_133:
	s_andn2_saveexec_b32 s0, s0
	s_cbranch_execz .LBB7_135
.LBB7_134:
	s_mov_b32 s2, 0x6dc9c883
	s_mov_b32 s3, 0x3fe45f30
	;; [unrolled: 1-line block ×3, first 2 shown]
	v_mul_f64 v[19:20], |v[13:14]|, s[2:3]
	s_mov_b32 s2, 0x54442d18
	s_mov_b32 s3, 0xbff921fb
	;; [unrolled: 1-line block ×3, first 2 shown]
	v_rndne_f64_e32 v[21:22], v[19:20]
	v_fma_f64 v[19:20], v[21:22], s[2:3], |v[13:14]|
	v_mul_f64 v[23:24], v[21:22], s[6:7]
	s_mov_b32 s2, 0x252049c0
	s_mov_b32 s3, 0xb97b839a
	v_cvt_i32_f64_e32 v31, v[21:22]
	v_fma_f64 v[27:28], v[21:22], s[6:7], v[19:20]
	v_add_f64 v[25:26], v[19:20], v[23:24]
	s_mov_b32 s7, 0x3c91a626
	v_add_f64 v[19:20], v[19:20], -v[25:26]
	v_add_f64 v[25:26], v[25:26], -v[27:28]
	v_add_f64 v[19:20], v[19:20], v[23:24]
	v_fma_f64 v[23:24], v[21:22], s[6:7], v[23:24]
	v_add_f64 v[19:20], v[25:26], v[19:20]
	v_add_f64 v[19:20], v[19:20], -v[23:24]
	v_fma_f64 v[23:24], v[21:22], s[2:3], v[19:20]
	v_add_f64 v[19:20], v[27:28], v[23:24]
	v_add_f64 v[25:26], v[19:20], -v[27:28]
	v_add_f64 v[23:24], v[23:24], -v[25:26]
.LBB7_135:
	s_or_b32 exec_lo, exec_lo, s0
	v_div_scale_f64 v[21:22], null, v[4:5], v[4:5], 0x40140000
	v_div_scale_f64 v[29:30], vcc_lo, 0x40140000, v[4:5], 0x40140000
	s_mov_b32 s0, 0x6b70ba40
	s_mov_b32 s1, 0x3faa27fa
	s_mov_b32 s2, 0x13443d69
	s_mov_b32 s3, 0x3f42b89b
	s_mov_b32 s6, 0xc66d8fd6
	s_mov_b32 s8, 0x60895077
	s_mov_b32 s7, 0x4013edb5
	s_mov_b32 s9, 0x40528f30
	v_mul_f64 v[38:39], v[19:20], v[19:20]
	v_mul_f64 v[50:51], v[15:16], v[15:16]
	s_mov_b32 s12, 0x9037ab78
	s_mov_b32 s14, 0x46cc5e42
	;; [unrolled: 1-line block ×6, first 2 shown]
	v_mul_f64 v[60:61], v[23:24], 0.5
	v_mul_f64 v[76:77], v[17:18], 0.5
	v_rcp_f64_e32 v[25:26], v[21:22]
	v_fma_f64 v[52:53], v[38:39], s[14:15], s[12:13]
	v_mul_f64 v[54:55], v[38:39], 0.5
	v_fma_f64 v[62:63], v[50:51], s[14:15], s[12:13]
	v_mul_f64 v[64:65], v[50:51], 0.5
	v_mul_f64 v[66:67], v[19:20], -v[38:39]
	v_mul_f64 v[78:79], v[15:16], -v[50:51]
	v_mul_f64 v[82:83], v[38:39], v[38:39]
	v_fma_f64 v[27:28], -v[21:22], v[25:26], 1.0
	v_fma_f64 v[25:26], v[25:26], v[27:28], v[25:26]
	v_fma_f64 v[27:28], -v[21:22], v[25:26], 1.0
	v_fma_f64 v[25:26], v[25:26], v[27:28], v[25:26]
	v_mul_f64 v[27:28], v[29:30], v[25:26]
	v_fma_f64 v[21:22], -v[21:22], v[27:28], v[29:30]
	v_div_fmas_f64 v[21:22], v[21:22], v[25:26], v[27:28]
	v_div_fixup_f64 v[21:22], v[21:22], v[4:5], 0x40140000
	v_mul_f64 v[25:26], v[21:22], v[21:22]
	v_fma_f64 v[27:28], v[25:26], 0, s[0:1]
	s_mov_b32 s0, 0x4c6c651b
	s_mov_b32 s1, 0x3f48f92c
	v_fma_f64 v[29:30], v[25:26], 0, s[2:3]
	v_fma_f64 v[32:33], v[25:26], 0, s[0:1]
	v_fma_f64 v[34:35], v[25:26], 0, s[8:9]
	s_mov_b32 s0, 0xa3fec4b6
	s_mov_b32 s2, 0x5948aa83
	s_mov_b32 s1, 0x3fb2b948
	s_mov_b32 s3, 0x3fb19fdd
	s_mov_b32 s8, 0xa20e5f6f
	s_mov_b32 s9, 0x409081cb
	v_fma_f64 v[27:28], v[25:26], v[27:28], s[6:7]
	s_mov_b32 s6, 0x9acf1c67
	s_mov_b32 s7, 0x4052f4b9
	v_fma_f64 v[29:30], v[25:26], v[29:30], s[2:3]
	v_fma_f64 v[32:33], v[25:26], v[32:33], s[0:1]
	v_fma_f64 v[34:35], v[25:26], v[34:35], s[8:9]
	s_mov_b32 s0, 0xc21596d6
	s_mov_b32 s2, 0xb850eed6
	s_mov_b32 s1, 0x3ff208fe
	s_mov_b32 s3, 0x3ff1aea9
	s_mov_b32 s8, 0x1bfdfe81
	s_mov_b32 s9, 0x40b37a69
	;; [unrolled: 12-line block ×6, first 2 shown]
	v_fma_f64 v[27:28], v[25:26], v[27:28], s[6:7]
	s_mov_b32 s6, 0xb42fdfa7
	s_mov_b32 s7, 0xbe5ae600
	v_fma_f64 v[29:30], v[25:26], v[29:30], 1.0
	v_fma_f64 v[32:33], v[25:26], v[32:33], 1.0
	v_fma_f64 v[34:35], v[25:26], v[34:35], s[2:3]
	v_fma_f64 v[44:45], v[38:39], s[8:9], s[6:7]
	s_mov_b32 s2, 0x796cde01
	s_mov_b32 s3, 0x3ec71de3
	v_fma_f64 v[25:26], v[25:26], v[27:28], s[0:1]
	v_cmp_gt_f64_e64 s0, 0x10000000, v[4:5]
	v_div_scale_f64 v[27:28], null, v[29:30], v[29:30], v[32:33]
	v_fma_f64 v[44:45], v[38:39], v[44:45], s[2:3]
	v_div_scale_f64 v[72:73], vcc_lo, v[32:33], v[29:30], v[32:33]
	v_div_scale_f64 v[36:37], null, v[34:35], v[34:35], v[25:26]
	v_rcp_f64_e32 v[40:41], v[27:28]
	v_fma_f64 v[44:45], v[38:39], v[44:45], s[16:17]
	v_rcp_f64_e32 v[42:43], v[36:37]
	v_fma_f64 v[46:47], -v[27:28], v[40:41], 1.0
	v_fma_f64 v[48:49], -v[36:37], v[42:43], 1.0
	v_fma_f64 v[40:41], v[40:41], v[46:47], v[40:41]
	v_fma_f64 v[46:47], v[50:51], s[8:9], s[6:7]
	s_mov_b32 s6, 0xa17f65f6
	s_mov_b32 s7, 0xbe927e4f
	;; [unrolled: 1-line block ×4, first 2 shown]
	v_fma_f64 v[44:45], v[38:39], v[44:45], s[8:9]
	v_fma_f64 v[42:43], v[42:43], v[48:49], v[42:43]
	v_cndmask_b32_e64 v48, 0, 0x100, s0
	v_fma_f64 v[56:57], -v[27:28], v[40:41], 1.0
	v_fma_f64 v[46:47], v[50:51], v[46:47], s[2:3]
	v_ldexp_f64 v[4:5], v[4:5], v48
	v_fma_f64 v[48:49], v[38:39], v[52:53], s[6:7]
	v_add_f64 v[52:53], -v[54:55], 1.0
	s_mov_b32 s2, 0x19f4ec90
	s_mov_b32 s3, 0x3efa01a0
	v_fma_f64 v[44:45], v[66:67], v[44:45], v[60:61]
	v_fma_f64 v[58:59], -v[36:37], v[42:43], 1.0
	v_fma_f64 v[40:41], v[40:41], v[56:57], v[40:41]
	v_div_scale_f64 v[56:57], s1, v[25:26], v[34:35], v[25:26]
	v_rsq_f64_e32 v[68:69], v[4:5]
	v_fma_f64 v[48:49], v[38:39], v[48:49], s[2:3]
	v_add_f64 v[70:71], -v[52:53], 1.0
	v_fma_f64 v[46:47], v[50:51], v[46:47], s[16:17]
	v_fma_f64 v[44:45], v[38:39], v[44:45], -v[23:24]
	v_fma_f64 v[42:43], v[42:43], v[58:59], v[42:43]
	v_fma_f64 v[58:59], v[50:51], v[62:63], s[6:7]
	v_add_f64 v[62:63], -v[64:65], 1.0
	s_mov_b32 s6, 0x16c16967
	s_mov_b32 s7, 0xbf56c16c
	v_fma_f64 v[48:49], v[38:39], v[48:49], s[6:7]
	v_mul_f64 v[60:61], v[4:5], v[68:69]
	v_mul_f64 v[68:69], v[68:69], 0.5
	v_add_f64 v[54:55], v[70:71], -v[54:55]
	v_mul_f64 v[70:71], v[72:73], v[40:41]
	v_fma_f64 v[46:47], v[50:51], v[46:47], s[8:9]
	s_mov_b32 s9, 0xbfc55555
	v_mul_f64 v[74:75], v[56:57], v[42:43]
	v_fma_f64 v[58:59], v[50:51], v[58:59], s[2:3]
	v_add_f64 v[80:81], -v[62:63], 1.0
	s_mov_b32 s2, 0x55555555
	s_mov_b32 s3, 0x3fa55555
	s_mov_b32 s8, s2
	v_fma_f64 v[44:45], v[66:67], s[8:9], v[44:45]
	v_fma_f64 v[38:39], v[38:39], v[48:49], s[2:3]
	v_fma_f64 v[84:85], -v[68:69], v[60:61], 0.5
	v_fma_f64 v[23:24], v[19:20], -v[23:24], v[54:55]
	v_fma_f64 v[27:28], -v[27:28], v[70:71], v[72:73]
	v_fma_f64 v[46:47], v[78:79], v[46:47], v[76:77]
	v_fma_f64 v[36:37], -v[36:37], v[74:75], v[56:57]
	v_fma_f64 v[48:49], v[50:51], v[58:59], s[6:7]
	v_add_f64 v[54:55], v[80:81], -v[64:65]
	v_add_f64 v[19:20], v[19:20], -v[44:45]
	v_fma_f64 v[56:57], v[60:61], v[84:85], v[60:61]
	v_fma_f64 v[23:24], v[82:83], v[38:39], v[23:24]
	v_div_fmas_f64 v[27:28], v[27:28], v[40:41], v[70:71]
	s_mov_b32 vcc_lo, s1
	v_mul_f64 v[38:39], v[50:51], v[50:51]
	v_fma_f64 v[44:45], v[68:69], v[84:85], v[68:69]
	v_div_fmas_f64 v[36:37], v[36:37], v[42:43], v[74:75]
	v_fma_f64 v[40:41], v[50:51], v[48:49], s[2:3]
	v_fma_f64 v[42:43], v[15:16], -v[17:18], v[54:55]
	v_fma_f64 v[17:18], v[50:51], v[46:47], -v[17:18]
	v_xor_b32_e32 v20, 0x80000000, v20
	v_fma_f64 v[46:47], -v[56:57], v[56:57], v[4:5]
	v_add_f64 v[23:24], v[52:53], v[23:24]
	v_div_fixup_f64 v[25:26], v[36:37], v[34:35], v[25:26]
	v_and_b32_e32 v36, 1, v31
	v_fma_f64 v[34:35], v[38:39], v[40:41], v[42:43]
	v_fma_f64 v[17:18], v[78:79], s[8:9], v[17:18]
	v_cmp_eq_u32_e32 vcc_lo, 0, v36
	v_fma_f64 v[36:37], v[46:47], v[44:45], v[56:57]
	v_cndmask_b32_e32 v24, v20, v24, vcc_lo
	v_cndmask_b32_e32 v23, v19, v23, vcc_lo
	v_cmp_class_f64_e64 vcc_lo, v[13:14], 0x1f8
	v_lshlrev_b32_e32 v13, 30, v31
	v_and_b32_e32 v13, 0x80000000, v13
	v_mul_f64 v[19:20], v[21:22], v[25:26]
	v_lshlrev_b32_e32 v25, 30, v8
	v_add_f64 v[21:22], v[62:63], v[34:35]
	v_add_f64 v[15:16], v[15:16], -v[17:18]
	v_xor_b32_e32 v13, v24, v13
	v_and_b32_e32 v8, 1, v8
	v_xor_b32_e32 v25, v25, v14
	v_fma_f64 v[17:18], -v[36:37], v[36:37], v[4:5]
	v_cmp_eq_u32_e64 s1, 0, v8
	v_cndmask_b32_e32 v23, 0, v23, vcc_lo
	v_cndmask_b32_e32 v24, 0x7ff80000, v13, vcc_lo
	v_div_fixup_f64 v[13:14], v[27:28], v[29:30], v[32:33]
	v_mul_f64 v[19:20], v[19:20], v[23:24]
	v_and_b32_e32 v23, 0x80000000, v25
	v_cndmask_b32_e64 v8, v22, v16, s1
	v_cndmask_b32_e64 v21, v21, v15, s1
	v_xor_b32_e32 v8, v8, v23
	v_fma_f64 v[15:16], v[17:18], v[44:45], v[36:37]
	v_cndmask_b32_e32 v17, 0, v21, vcc_lo
	v_cndmask_b32_e32 v18, 0x7ff80000, v8, vcc_lo
	v_cndmask_b32_e64 v8, 0, 0xffffff80, s0
	v_cmp_class_f64_e64 vcc_lo, v[4:5], 0x260
	s_mov_b32 s0, 0x33d43651
	s_mov_b32 s1, 0x3fe98845
	v_fma_f64 v[13:14], v[13:14], v[17:18], v[19:20]
	v_ldexp_f64 v[15:16], v[15:16], v8
	v_mul_f64 v[13:14], v[13:14], s[0:1]
	v_cndmask_b32_e32 v5, v16, v5, vcc_lo
	v_cndmask_b32_e32 v4, v15, v4, vcc_lo
	v_div_scale_f64 v[15:16], null, v[4:5], v[4:5], v[13:14]
	v_rcp_f64_e32 v[17:18], v[15:16]
	v_fma_f64 v[19:20], -v[15:16], v[17:18], 1.0
	v_fma_f64 v[17:18], v[17:18], v[19:20], v[17:18]
	v_fma_f64 v[19:20], -v[15:16], v[17:18], 1.0
	v_fma_f64 v[17:18], v[17:18], v[19:20], v[17:18]
	v_div_scale_f64 v[19:20], vcc_lo, v[13:14], v[4:5], v[13:14]
	v_mul_f64 v[21:22], v[19:20], v[17:18]
	v_fma_f64 v[15:16], -v[15:16], v[21:22], v[19:20]
	v_div_fmas_f64 v[15:16], v[15:16], v[17:18], v[21:22]
	v_div_fixup_f64 v[13:14], v[15:16], v[4:5], v[13:14]
.LBB7_136:
	s_or_b32 exec_lo, exec_lo, s10
	global_store_dwordx2 v0, v[6:7], s[4:5]
	global_store_dwordx2 v1, v[9:10], s[4:5]
	;; [unrolled: 1-line block ×4, first 2 shown]
	s_endpgm
.LBB7_137:
	v_mov_b32_e32 v0, 0
	v_mov_b32_e32 v2, 0
	s_branch .LBB7_143
.LBB7_138:
	v_mov_b32_e32 v0, 0
	v_mov_b32_e32 v2, 0
	s_branch .LBB7_175
.LBB7_139:
	v_mov_b32_e32 v0, 0
	v_mov_b32_e32 v2, 0
	;; [unrolled: 1-line block ×3, first 2 shown]
	s_mov_b32 s31, 0
.LBB7_140:
	s_and_b32 s33, s33, 3
	s_cmp_eq_u32 s33, 0
	s_cbranch_scc1 .LBB7_143
; %bb.141:
	s_lshl_b32 s0, s31, 3
	s_mul_i32 s2, s31, 12
	s_add_u32 s0, s16, s0
	s_addc_u32 s1, s17, 0
	s_add_u32 s0, s0, 0xc4
	s_addc_u32 s1, s1, 0
	;; [unrolled: 2-line block ×3, first 2 shown]
	.p2align	6
.LBB7_142:                              ; =>This Inner Loop Header: Depth=1
	s_clause 0x1
	s_load_dwordx2 s[34:35], s[2:3], 0x4
	s_load_dword s31, s[2:3], 0xc
	s_load_dwordx2 s[36:37], s[0:1], 0x0
	s_add_u32 s2, s2, 12
	s_addc_u32 s3, s3, 0
	s_add_u32 s0, s0, 8
	s_addc_u32 s1, s1, 0
	s_add_i32 s33, s33, -1
	s_cmp_lg_u32 s33, 0
	s_waitcnt lgkmcnt(0)
	v_mul_hi_u32 v3, s35, v1
	v_add_nc_u32_e32 v3, v1, v3
	v_lshrrev_b32_e32 v4, s31, v3
	v_mul_lo_u32 v3, v4, s34
	v_sub_nc_u32_e32 v3, v1, v3
	v_mad_u64_u32 v[0:1], null, v3, s36, v[0:1]
	v_mad_u64_u32 v[2:3], null, v3, s37, v[2:3]
	v_mov_b32_e32 v1, v4
	s_cbranch_scc1 .LBB7_142
.LBB7_143:
	s_cbranch_execnz .LBB7_146
.LBB7_144:
	s_waitcnt lgkmcnt(0)
	v_mul_hi_u32 v0, s13, v13
	s_andn2_b32 vcc_lo, exec_lo, s26
	v_add_nc_u32_e32 v0, v13, v0
	v_lshrrev_b32_e32 v1, s14, v0
	v_mul_lo_u32 v0, v1, s12
	v_sub_nc_u32_e32 v2, v13, v0
	v_mul_lo_u32 v0, v2, s8
	v_mul_lo_u32 v2, v2, s9
	s_cbranch_vccnz .LBB7_146
; %bb.145:
	v_mul_hi_u32 v3, s18, v1
	v_add_nc_u32_e32 v3, v1, v3
	v_lshrrev_b32_e32 v3, s19, v3
	v_mul_lo_u32 v3, v3, s15
	v_sub_nc_u32_e32 v3, v1, v3
	v_mad_u64_u32 v[0:1], null, v3, s10, v[0:1]
	v_mad_u64_u32 v[2:3], null, v3, s11, v[2:3]
.LBB7_146:
	s_waitcnt lgkmcnt(0)
	global_load_dwordx2 v[1:2], v2, s[6:7]
                                        ; implicit-def: $vgpr3_vgpr4
	s_mov_b32 s0, exec_lo
	s_waitcnt vmcnt(0)
	v_cmpx_ge_f64_e32 0x40140000, v[1:2]
	s_xor_b32 s2, exec_lo, s0
	s_cbranch_execz .LBB7_152
; %bb.147:
	v_mov_b32_e32 v3, 0
	v_mov_b32_e32 v4, 0xfff00000
	s_mov_b32 s3, exec_lo
	v_cmpx_neq_f64_e32 0, v[1:2]
	s_cbranch_execz .LBB7_151
; %bb.148:
	v_mov_b32_e32 v3, 0
	v_mov_b32_e32 v4, 0x7ff80000
	s_mov_b32 s31, exec_lo
	v_cmpx_nge_f64_e32 0, v[1:2]
	s_cbranch_execz .LBB7_150
; %bb.149:
	v_frexp_mant_f64_e32 v[3:4], v[1:2]
	s_mov_b32 s1, 0x3fe55555
	s_mov_b32 s0, 0x55555555
	;; [unrolled: 1-line block ×8, first 2 shown]
	v_frexp_exp_i32_f64_e32 v26, v[1:2]
	s_mov_b32 s40, 0xfefa39ef
	s_mov_b32 s41, 0x3fe62e42
	v_cmp_gt_f64_e32 vcc_lo, s[0:1], v[3:4]
	s_mov_b32 s0, 0x55555780
	v_cndmask_b32_e64 v5, 0, 1, vcc_lo
	v_ldexp_f64 v[3:4], v[3:4], v5
	v_add_f64 v[5:6], v[3:4], 1.0
	v_add_f64 v[11:12], v[3:4], -1.0
	v_rcp_f64_e32 v[7:8], v[5:6]
	v_add_f64 v[14:15], v[5:6], -1.0
	v_add_f64 v[3:4], v[3:4], -v[14:15]
	v_fma_f64 v[9:10], -v[5:6], v[7:8], 1.0
	v_fma_f64 v[7:8], v[9:10], v[7:8], v[7:8]
	v_fma_f64 v[9:10], -v[5:6], v[7:8], 1.0
	v_fma_f64 v[7:8], v[9:10], v[7:8], v[7:8]
	v_mul_f64 v[9:10], v[11:12], v[7:8]
	v_mul_f64 v[16:17], v[5:6], v[9:10]
	v_fma_f64 v[5:6], v[9:10], v[5:6], -v[16:17]
	v_fma_f64 v[3:4], v[9:10], v[3:4], v[5:6]
	v_add_f64 v[5:6], v[16:17], v[3:4]
	v_add_f64 v[14:15], v[11:12], -v[5:6]
	v_add_f64 v[16:17], v[5:6], -v[16:17]
	;; [unrolled: 1-line block ×5, first 2 shown]
	v_add_f64 v[3:4], v[3:4], v[5:6]
	v_add_f64 v[3:4], v[14:15], v[3:4]
	v_mul_f64 v[14:15], v[1:2], v[1:2]
	v_mul_f64 v[3:4], v[7:8], v[3:4]
	v_add_f64 v[5:6], v[9:10], v[3:4]
	v_mul_f64 v[7:8], v[5:6], v[5:6]
	v_ldexp_f64 v[24:25], v[5:6], 1
	v_fma_f64 v[11:12], v[7:8], s[36:37], s[34:35]
	s_mov_b32 s34, 0xd7f4df2e
	s_mov_b32 s35, 0x3fc7474d
	;; [unrolled: 1-line block ×4, first 2 shown]
	v_mul_f64 v[22:23], v[5:6], v[7:8]
	v_fma_f64 v[18:19], v[14:15], 0, s[36:37]
	s_mov_b32 s36, 0xdd701b2
	s_mov_b32 s37, 0x410f5eda
	v_add_f64 v[5:6], v[5:6], -v[9:10]
	v_fma_f64 v[11:12], v[7:8], v[11:12], s[34:35]
	s_mov_b32 s34, 0xa93f7ac2
	s_mov_b32 s35, 0x40829269
	v_fma_f64 v[16:17], v[14:15], 0, s[34:35]
	s_mov_b32 s34, 0x16291751
	s_mov_b32 s35, 0x3fcc71c0
	;; [unrolled: 3-line block ×3, first 2 shown]
	v_add_f64 v[3:4], v[3:4], -v[5:6]
	v_fma_f64 v[11:12], v[7:8], v[11:12], s[34:35]
	s_mov_b32 s34, 0xbe58ef7f
	s_mov_b32 s35, 0x410cc160
	v_fma_f64 v[16:17], v[14:15], v[16:17], s[34:35]
	s_mov_b32 s34, 0x9b27acf1
	s_mov_b32 s35, 0x3fd24924
	;; [unrolled: 3-line block ×3, first 2 shown]
	v_ldexp_f64 v[3:4], v[3:4], 1
	v_fma_f64 v[11:12], v[7:8], v[11:12], s[34:35]
	s_mov_b32 s34, 0x62f9b6c5
	s_mov_b32 s35, 0x41d2d2be
	v_fma_f64 v[20:21], v[14:15], 0, s[34:35]
	v_fma_f64 v[16:17], v[14:15], v[16:17], s[36:37]
	s_mov_b32 s34, 0x998ef7b6
	s_mov_b32 s35, 0x3fd99999
	;; [unrolled: 1-line block ×4, first 2 shown]
	v_fma_f64 v[18:19], v[14:15], v[18:19], s[38:39]
	s_mov_b32 s38, 0x8076ffa8
	s_mov_b32 s39, 0x429146fb
	v_fma_f64 v[11:12], v[7:8], v[11:12], s[34:35]
	s_mov_b32 s34, 0x58836521
	s_mov_b32 s35, 0xc262d72d
	v_fma_f64 v[20:21], v[14:15], v[20:21], s[34:35]
	v_fma_f64 v[16:17], v[14:15], v[16:17], s[36:37]
	s_mov_b32 s34, 0xfda99316
	s_mov_b32 s36, 0x4cda4fc5
	;; [unrolled: 1-line block ×4, first 2 shown]
	v_fma_f64 v[18:19], v[14:15], v[18:19], s[38:39]
	s_mov_b32 s38, 0x3eccf45f
	s_mov_b32 s39, 0x43064b0a
	v_fma_f64 v[7:8], v[7:8], v[11:12], s[0:1]
	s_mov_b32 s0, 0xb0910fef
	s_mov_b32 s1, 0x42da0954
	v_fma_f64 v[11:12], v[14:15], v[20:21], s[0:1]
	v_fma_f64 v[16:17], v[14:15], v[16:17], s[34:35]
	;; [unrolled: 1-line block ×3, first 2 shown]
	s_mov_b32 s0, 0x37a1b083
	s_mov_b32 s34, 0xd71d1e4e
	;; [unrolled: 1-line block ×6, first 2 shown]
	v_fma_f64 v[18:19], v[14:15], v[18:19], s[38:39]
	s_mov_b32 s38, 0xf4653f81
	s_mov_b32 s39, 0x4373e0bf
	v_mul_f64 v[7:8], v[22:23], v[7:8]
	v_subrev_co_ci_u32_e64 v22, null, 0, v26, vcc_lo
	v_fma_f64 v[11:12], v[14:15], v[11:12], s[0:1]
	v_fma_f64 v[16:17], v[14:15], v[16:17], s[34:35]
	;; [unrolled: 1-line block ×3, first 2 shown]
	v_cvt_f64_i32_e32 v[22:23], v22
	s_mov_b32 s0, 0xb7366b1
	s_mov_b32 s34, 0xc547a488
	;; [unrolled: 1-line block ×6, first 2 shown]
	v_fma_f64 v[18:19], v[14:15], v[18:19], s[38:39]
	s_mov_b32 s38, 0xa697c482
	s_mov_b32 s39, 0x432a2b42
	v_add_f64 v[9:10], v[24:25], v[7:8]
	v_fma_f64 v[11:12], v[14:15], v[11:12], s[0:1]
	v_fma_f64 v[16:17], v[14:15], v[16:17], s[34:35]
	;; [unrolled: 1-line block ×3, first 2 shown]
	v_mul_f64 v[26:27], v[22:23], s[40:41]
	s_mov_b32 s0, 0x90f6747f
	s_mov_b32 s34, 0x5dde2b17
	;; [unrolled: 1-line block ×6, first 2 shown]
	v_add_f64 v[5:6], v[9:10], -v[24:25]
	v_fma_f64 v[11:12], v[14:15], v[11:12], s[34:35]
	v_fma_f64 v[16:17], v[14:15], v[16:17], s[0:1]
	;; [unrolled: 1-line block ×4, first 2 shown]
	v_fma_f64 v[18:19], v[22:23], s[40:41], -v[26:27]
	s_mov_b32 s0, 0x3b39803f
	s_mov_b32 s1, 0x3c7abc9e
	v_add_f64 v[5:6], v[7:8], -v[5:6]
	v_div_scale_f64 v[7:8], null, v[16:17], v[16:17], v[11:12]
	v_div_scale_f64 v[24:25], null, v[14:15], v[14:15], v[20:21]
	v_fma_f64 v[18:19], v[22:23], s[0:1], v[18:19]
	v_add_f64 v[3:4], v[3:4], v[5:6]
	v_rcp_f64_e32 v[5:6], v[7:8]
	v_rcp_f64_e32 v[22:23], v[24:25]
	v_add_f64 v[28:29], v[26:27], v[18:19]
	v_add_f64 v[30:31], v[9:10], v[3:4]
	v_fma_f64 v[32:33], -v[7:8], v[5:6], 1.0
	v_fma_f64 v[34:35], -v[24:25], v[22:23], 1.0
	v_add_f64 v[26:27], v[28:29], -v[26:27]
	v_add_f64 v[36:37], v[28:29], v[30:31]
	v_add_f64 v[9:10], v[30:31], -v[9:10]
	v_fma_f64 v[5:6], v[5:6], v[32:33], v[5:6]
	v_fma_f64 v[22:23], v[22:23], v[34:35], v[22:23]
	v_div_scale_f64 v[34:35], null, v[1:2], v[1:2], -1.0
	v_add_f64 v[18:19], v[18:19], -v[26:27]
	v_div_scale_f64 v[26:27], vcc_lo, v[11:12], v[16:17], v[11:12]
	v_add_f64 v[32:33], v[36:37], -v[28:29]
	v_add_f64 v[3:4], v[3:4], -v[9:10]
	v_fma_f64 v[38:39], -v[7:8], v[5:6], 1.0
	v_fma_f64 v[40:41], -v[24:25], v[22:23], 1.0
	v_rcp_f64_e32 v[44:45], v[34:35]
	v_add_f64 v[42:43], v[36:37], -v[32:33]
	v_add_f64 v[9:10], v[30:31], -v[32:33]
	v_fma_f64 v[5:6], v[5:6], v[38:39], v[5:6]
	v_div_scale_f64 v[38:39], s0, v[20:21], v[14:15], v[20:21]
	v_fma_f64 v[22:23], v[22:23], v[40:41], v[22:23]
	v_fma_f64 v[30:31], -v[34:35], v[44:45], 1.0
	v_add_f64 v[28:29], v[28:29], -v[42:43]
	v_add_f64 v[42:43], v[18:19], v[3:4]
	v_mul_f64 v[32:33], v[26:27], v[5:6]
	v_mul_f64 v[40:41], v[38:39], v[22:23]
	v_add_f64 v[9:10], v[9:10], v[28:29]
	v_fma_f64 v[28:29], v[44:45], v[30:31], v[44:45]
	v_fma_f64 v[7:8], -v[7:8], v[32:33], v[26:27]
	v_add_f64 v[26:27], v[42:43], -v[18:19]
	v_fma_f64 v[24:25], -v[24:25], v[40:41], v[38:39]
	v_add_f64 v[9:10], v[42:43], v[9:10]
	v_fma_f64 v[30:31], -v[34:35], v[28:29], 1.0
	v_div_fmas_f64 v[5:6], v[7:8], v[5:6], v[32:33]
	s_mov_b32 vcc_lo, s0
	v_add_f64 v[3:4], v[3:4], -v[26:27]
	v_div_fmas_f64 v[7:8], v[24:25], v[22:23], v[40:41]
	v_add_f64 v[22:23], v[42:43], -v[26:27]
	v_div_scale_f64 v[32:33], vcc_lo, -1.0, v[1:2], -1.0
	s_mov_b32 s0, 0x4189822c
	s_mov_b32 s1, 0xc02d5d2b
	v_add_f64 v[24:25], v[36:37], v[9:10]
	v_fma_f64 v[28:29], v[28:29], v[30:31], v[28:29]
	v_div_fixup_f64 v[5:6], v[5:6], v[16:17], v[11:12]
	v_div_fixup_f64 v[7:8], v[7:8], v[14:15], v[20:21]
	v_add_f64 v[14:15], v[18:19], -v[22:23]
	v_fma_f64 v[22:23], v[1:2], v[1:2], s[0:1]
	s_mov_b32 s0, 0x6072a432
	s_mov_b32 s1, 0xc0489bf6
	v_add_f64 v[18:19], v[24:25], -v[36:37]
	v_mul_f64 v[20:21], v[32:33], v[28:29]
	v_mul_f64 v[7:8], v[1:2], v[7:8]
	v_add_f64 v[3:4], v[3:4], v[14:15]
	v_add_f64 v[9:10], v[9:10], -v[18:19]
	v_fma_f64 v[14:15], -v[34:35], v[20:21], v[32:33]
	v_fma_f64 v[18:19], v[1:2], v[1:2], s[0:1]
	s_mov_b32 s0, 0x6dc9c883
	s_mov_b32 s1, 0x3fe45f30
	v_mul_f64 v[7:8], v[22:23], v[7:8]
	v_add_f64 v[3:4], v[3:4], v[9:10]
	v_div_fmas_f64 v[9:10], v[14:15], v[28:29], v[20:21]
	v_mul_f64 v[7:8], v[18:19], v[7:8]
	v_add_f64 v[3:4], v[24:25], v[3:4]
	v_div_fixup_f64 v[9:10], v[9:10], v[1:2], -1.0
	v_fma_f64 v[3:4], v[7:8], v[3:4], v[9:10]
	v_mul_f64 v[3:4], v[3:4], s[0:1]
	v_fma_f64 v[3:4], v[1:2], v[5:6], v[3:4]
.LBB7_150:
	s_or_b32 exec_lo, exec_lo, s31
.LBB7_151:
	s_or_b32 exec_lo, exec_lo, s3
                                        ; implicit-def: $vgpr1_vgpr2
.LBB7_152:
	s_andn2_saveexec_b32 s3, s2
	s_cbranch_execz .LBB7_162
; %bb.153:
	s_mov_b32 s0, 0x7f3321d2
	s_mov_b32 s1, 0xc002d97c
                                        ; implicit-def: $vgpr14
                                        ; implicit-def: $vgpr5_vgpr6
                                        ; implicit-def: $vgpr7_vgpr8
	v_add_f64 v[3:4], v[1:2], s[0:1]
	v_cmp_ngt_f64_e64 s0, 0x41d00000, |v[3:4]|
	s_and_saveexec_b32 s1, s0
	s_xor_b32 s1, exec_lo, s1
	s_cbranch_execz .LBB7_155
; %bb.154:
	v_ldexp_f64 v[5:6], |v[3:4]|, 0xffffff80
	v_cmp_le_f64_e64 vcc_lo, 0x7b000000, |v[3:4]|
	v_trig_preop_f64 v[7:8], |v[3:4]|, 0
	v_and_b32_e32 v9, 0x7fffffff, v4
	v_trig_preop_f64 v[20:21], |v[3:4]|, 2
	v_mov_b32_e32 v28, 0
	s_mov_b32 s34, 0x54442d18
	s_mov_b32 s35, 0x3ff921fb
	;; [unrolled: 1-line block ×4, first 2 shown]
	v_cndmask_b32_e32 v6, v9, v6, vcc_lo
	v_cndmask_b32_e32 v5, v3, v5, vcc_lo
	v_trig_preop_f64 v[9:10], |v[3:4]|, 1
	v_mul_f64 v[11:12], v[7:8], v[5:6]
	v_mul_f64 v[26:27], v[20:21], v[5:6]
	;; [unrolled: 1-line block ×3, first 2 shown]
	v_fma_f64 v[7:8], v[7:8], v[5:6], -v[11:12]
	v_fma_f64 v[9:10], v[9:10], v[5:6], -v[14:15]
	;; [unrolled: 1-line block ×3, first 2 shown]
	v_add_f64 v[16:17], v[14:15], v[7:8]
	v_add_f64 v[18:19], v[16:17], -v[14:15]
	v_add_f64 v[24:25], v[11:12], v[16:17]
	v_add_f64 v[22:23], v[16:17], -v[18:19]
	v_add_f64 v[7:8], v[7:8], -v[18:19]
	v_ldexp_f64 v[18:19], v[24:25], -2
	v_add_f64 v[11:12], v[24:25], -v[11:12]
	v_add_f64 v[14:15], v[14:15], -v[22:23]
	v_add_f64 v[22:23], v[26:27], v[9:10]
	v_cmp_neq_f64_e64 vcc_lo, 0x7ff00000, |v[18:19]|
	v_add_f64 v[11:12], v[16:17], -v[11:12]
	v_add_f64 v[7:8], v[7:8], v[14:15]
	v_fract_f64_e32 v[14:15], v[18:19]
	v_add_f64 v[16:17], v[22:23], v[7:8]
	v_ldexp_f64 v[14:15], v[14:15], 2
	v_add_f64 v[18:19], v[11:12], v[16:17]
	v_cndmask_b32_e32 v15, 0, v15, vcc_lo
	v_cndmask_b32_e32 v14, 0, v14, vcc_lo
	v_add_f64 v[24:25], v[18:19], v[14:15]
	v_add_f64 v[11:12], v[18:19], -v[11:12]
	v_cmp_gt_f64_e32 vcc_lo, 0, v[24:25]
	v_add_f64 v[24:25], v[22:23], -v[26:27]
	v_add_f64 v[11:12], v[16:17], -v[11:12]
	v_cndmask_b32_e64 v29, 0, 0x40100000, vcc_lo
	v_add_f64 v[33:34], v[22:23], -v[24:25]
	v_add_f64 v[9:10], v[9:10], -v[24:25]
	v_add_f64 v[14:15], v[14:15], v[28:29]
	v_add_f64 v[29:30], v[16:17], -v[22:23]
	v_add_f64 v[24:25], v[26:27], -v[33:34]
	v_add_f64 v[31:32], v[18:19], v[14:15]
	;; [unrolled: 3-line block ×3, first 2 shown]
	v_cvt_i32_f64_e32 v31, v[31:32]
	v_add_f64 v[22:23], v[22:23], -v[35:36]
	v_cvt_f64_i32_e32 v[29:30], v31
	v_add_f64 v[7:8], v[7:8], v[22:23]
	v_add_f64 v[14:15], v[14:15], -v[29:30]
	v_add_f64 v[7:8], v[9:10], v[7:8]
	v_add_f64 v[9:10], v[18:19], v[14:15]
	;; [unrolled: 1-line block ×3, first 2 shown]
	v_add_f64 v[7:8], v[9:10], -v[14:15]
	v_cmp_le_f64_e32 vcc_lo, 0.5, v[9:10]
	v_add_f64 v[5:6], v[11:12], v[5:6]
	v_add_f64 v[7:8], v[18:19], -v[7:8]
	v_cndmask_b32_e64 v29, 0, 0x3ff00000, vcc_lo
	v_add_co_ci_u32_e64 v14, null, 0, v31, vcc_lo
	v_add_f64 v[5:6], v[5:6], v[7:8]
	v_add_f64 v[7:8], v[9:10], -v[28:29]
	v_add_f64 v[9:10], v[7:8], v[5:6]
	v_mul_f64 v[11:12], v[9:10], s[34:35]
	v_add_f64 v[7:8], v[9:10], -v[7:8]
	v_fma_f64 v[15:16], v[9:10], s[34:35], -v[11:12]
	v_add_f64 v[5:6], v[5:6], -v[7:8]
	v_fma_f64 v[7:8], v[9:10], s[36:37], v[15:16]
	v_fma_f64 v[7:8], v[5:6], s[34:35], v[7:8]
	v_add_f64 v[5:6], v[11:12], v[7:8]
	v_add_f64 v[9:10], v[5:6], -v[11:12]
	v_add_f64 v[7:8], v[7:8], -v[9:10]
	s_andn2_saveexec_b32 s1, s1
	s_cbranch_execz .LBB7_157
	s_branch .LBB7_156
.LBB7_155:
	s_andn2_saveexec_b32 s1, s1
	s_cbranch_execz .LBB7_157
.LBB7_156:
	s_mov_b32 s34, 0x6dc9c883
	s_mov_b32 s35, 0x3fe45f30
	;; [unrolled: 1-line block ×3, first 2 shown]
	v_mul_f64 v[5:6], |v[3:4]|, s[34:35]
	s_mov_b32 s34, 0x54442d18
	s_mov_b32 s35, 0xbff921fb
	;; [unrolled: 1-line block ×3, first 2 shown]
	v_rndne_f64_e32 v[9:10], v[5:6]
	v_fma_f64 v[5:6], v[9:10], s[34:35], |v[3:4]|
	v_mul_f64 v[7:8], v[9:10], s[36:37]
	s_mov_b32 s34, 0x252049c0
	s_mov_b32 s35, 0xb97b839a
	v_fma_f64 v[14:15], v[9:10], s[36:37], v[5:6]
	v_add_f64 v[11:12], v[5:6], v[7:8]
	s_mov_b32 s37, 0x3c91a626
	v_add_f64 v[5:6], v[5:6], -v[11:12]
	v_add_f64 v[11:12], v[11:12], -v[14:15]
	v_add_f64 v[5:6], v[5:6], v[7:8]
	v_fma_f64 v[7:8], v[9:10], s[36:37], v[7:8]
	v_add_f64 v[5:6], v[11:12], v[5:6]
	v_add_f64 v[5:6], v[5:6], -v[7:8]
	v_fma_f64 v[7:8], v[9:10], s[34:35], v[5:6]
	v_add_f64 v[5:6], v[14:15], v[7:8]
	v_add_f64 v[11:12], v[5:6], -v[14:15]
	v_cvt_i32_f64_e32 v14, v[9:10]
	v_add_f64 v[7:8], v[7:8], -v[11:12]
.LBB7_157:
	s_or_b32 exec_lo, exec_lo, s1
                                        ; implicit-def: $vgpr15
                                        ; implicit-def: $vgpr9_vgpr10
                                        ; implicit-def: $vgpr11_vgpr12
	s_and_saveexec_b32 s1, s0
	s_xor_b32 s0, exec_lo, s1
	s_cbranch_execz .LBB7_159
; %bb.158:
	v_ldexp_f64 v[9:10], |v[3:4]|, 0xffffff80
	v_cmp_le_f64_e64 vcc_lo, 0x7b000000, |v[3:4]|
	v_trig_preop_f64 v[11:12], |v[3:4]|, 0
	v_and_b32_e32 v15, 0x7fffffff, v4
	v_trig_preop_f64 v[25:26], |v[3:4]|, 2
	v_mov_b32_e32 v33, 0
	s_mov_b32 s34, 0x54442d18
	s_mov_b32 s35, 0x3ff921fb
	;; [unrolled: 1-line block ×4, first 2 shown]
	v_cndmask_b32_e32 v10, v15, v10, vcc_lo
	v_cndmask_b32_e32 v9, v3, v9, vcc_lo
	v_trig_preop_f64 v[15:16], |v[3:4]|, 1
	v_mul_f64 v[17:18], v[11:12], v[9:10]
	v_mul_f64 v[31:32], v[25:26], v[9:10]
	;; [unrolled: 1-line block ×3, first 2 shown]
	v_fma_f64 v[11:12], v[11:12], v[9:10], -v[17:18]
	v_fma_f64 v[15:16], v[15:16], v[9:10], -v[19:20]
	;; [unrolled: 1-line block ×3, first 2 shown]
	v_add_f64 v[21:22], v[19:20], v[11:12]
	v_add_f64 v[23:24], v[21:22], -v[19:20]
	v_add_f64 v[29:30], v[17:18], v[21:22]
	v_add_f64 v[27:28], v[21:22], -v[23:24]
	v_add_f64 v[11:12], v[11:12], -v[23:24]
	v_ldexp_f64 v[23:24], v[29:30], -2
	v_add_f64 v[17:18], v[29:30], -v[17:18]
	v_add_f64 v[19:20], v[19:20], -v[27:28]
	v_add_f64 v[27:28], v[31:32], v[15:16]
	v_cmp_neq_f64_e64 vcc_lo, 0x7ff00000, |v[23:24]|
	v_add_f64 v[17:18], v[21:22], -v[17:18]
	v_add_f64 v[11:12], v[11:12], v[19:20]
	v_fract_f64_e32 v[19:20], v[23:24]
	v_add_f64 v[21:22], v[27:28], v[11:12]
	v_ldexp_f64 v[19:20], v[19:20], 2
	v_add_f64 v[23:24], v[17:18], v[21:22]
	v_cndmask_b32_e32 v20, 0, v20, vcc_lo
	v_cndmask_b32_e32 v19, 0, v19, vcc_lo
	v_add_f64 v[29:30], v[23:24], v[19:20]
	v_add_f64 v[17:18], v[23:24], -v[17:18]
	v_cmp_gt_f64_e32 vcc_lo, 0, v[29:30]
	v_add_f64 v[29:30], v[27:28], -v[31:32]
	v_cndmask_b32_e64 v34, 0, 0x40100000, vcc_lo
	v_add_f64 v[38:39], v[27:28], -v[29:30]
	v_add_f64 v[15:16], v[15:16], -v[29:30]
	v_add_f64 v[19:20], v[19:20], v[33:34]
	v_add_f64 v[34:35], v[21:22], -v[27:28]
	v_add_f64 v[29:30], v[31:32], -v[38:39]
	v_add_f64 v[36:37], v[23:24], v[19:20]
	;; [unrolled: 3-line block ×3, first 2 shown]
	v_cvt_i32_f64_e32 v36, v[36:37]
	v_add_f64 v[27:28], v[27:28], -v[40:41]
	v_cvt_f64_i32_e32 v[34:35], v36
	v_add_f64 v[11:12], v[11:12], v[27:28]
	v_add_f64 v[19:20], v[19:20], -v[34:35]
	v_add_f64 v[11:12], v[15:16], v[11:12]
	v_add_f64 v[15:16], v[21:22], -v[17:18]
	v_add_f64 v[25:26], v[23:24], v[19:20]
	v_add_f64 v[9:10], v[9:10], v[11:12]
	v_add_f64 v[11:12], v[25:26], -v[19:20]
	v_cmp_le_f64_e32 vcc_lo, 0.5, v[25:26]
	v_add_f64 v[9:10], v[15:16], v[9:10]
	v_add_f64 v[11:12], v[23:24], -v[11:12]
	v_cndmask_b32_e64 v34, 0, 0x3ff00000, vcc_lo
	v_add_co_ci_u32_e64 v15, null, 0, v36, vcc_lo
	v_add_f64 v[9:10], v[9:10], v[11:12]
	v_add_f64 v[11:12], v[25:26], -v[33:34]
	v_add_f64 v[16:17], v[11:12], v[9:10]
	v_mul_f64 v[18:19], v[16:17], s[34:35]
	v_add_f64 v[11:12], v[16:17], -v[11:12]
	v_fma_f64 v[20:21], v[16:17], s[34:35], -v[18:19]
	v_add_f64 v[9:10], v[9:10], -v[11:12]
	v_fma_f64 v[11:12], v[16:17], s[36:37], v[20:21]
	v_fma_f64 v[11:12], v[9:10], s[34:35], v[11:12]
	v_add_f64 v[9:10], v[18:19], v[11:12]
	v_add_f64 v[16:17], v[9:10], -v[18:19]
	v_add_f64 v[11:12], v[11:12], -v[16:17]
	s_andn2_saveexec_b32 s0, s0
	s_cbranch_execnz .LBB7_160
	s_branch .LBB7_161
.LBB7_159:
	s_andn2_saveexec_b32 s0, s0
	s_cbranch_execz .LBB7_161
.LBB7_160:
	s_mov_b32 s34, 0x6dc9c883
	s_mov_b32 s35, 0x3fe45f30
	;; [unrolled: 1-line block ×3, first 2 shown]
	v_mul_f64 v[9:10], |v[3:4]|, s[34:35]
	s_mov_b32 s34, 0x54442d18
	s_mov_b32 s35, 0xbff921fb
	;; [unrolled: 1-line block ×3, first 2 shown]
	v_rndne_f64_e32 v[15:16], v[9:10]
	v_fma_f64 v[9:10], v[15:16], s[34:35], |v[3:4]|
	v_mul_f64 v[11:12], v[15:16], s[36:37]
	s_mov_b32 s34, 0x252049c0
	s_mov_b32 s35, 0xb97b839a
	v_fma_f64 v[19:20], v[15:16], s[36:37], v[9:10]
	v_add_f64 v[17:18], v[9:10], v[11:12]
	s_mov_b32 s37, 0x3c91a626
	v_add_f64 v[9:10], v[9:10], -v[17:18]
	v_add_f64 v[17:18], v[17:18], -v[19:20]
	v_add_f64 v[9:10], v[9:10], v[11:12]
	v_fma_f64 v[11:12], v[15:16], s[36:37], v[11:12]
	v_add_f64 v[9:10], v[17:18], v[9:10]
	v_add_f64 v[9:10], v[9:10], -v[11:12]
	v_fma_f64 v[11:12], v[15:16], s[34:35], v[9:10]
	v_cvt_i32_f64_e32 v15, v[15:16]
	v_add_f64 v[9:10], v[19:20], v[11:12]
	v_add_f64 v[17:18], v[9:10], -v[19:20]
	v_add_f64 v[11:12], v[11:12], -v[17:18]
.LBB7_161:
	s_or_b32 exec_lo, exec_lo, s0
	v_div_scale_f64 v[16:17], null, v[1:2], v[1:2], 0x40140000
	v_div_scale_f64 v[22:23], vcc_lo, 0x40140000, v[1:2], 0x40140000
	s_mov_b32 s0, 0x6b70ba40
	s_mov_b32 s1, 0x3faa27fa
	;; [unrolled: 1-line block ×8, first 2 shown]
	v_mul_f64 v[30:31], v[5:6], v[5:6]
	v_mul_f64 v[36:37], v[9:10], v[9:10]
	v_mul_f64 v[60:61], v[7:8], 0.5
	v_mul_f64 v[66:67], v[11:12], 0.5
	v_rcp_f64_e32 v[18:19], v[16:17]
	v_mul_f64 v[48:49], v[30:31], 0.5
	v_mul_f64 v[62:63], v[5:6], -v[30:31]
	v_fma_f64 v[20:21], -v[16:17], v[18:19], 1.0
	v_fma_f64 v[18:19], v[18:19], v[20:21], v[18:19]
	v_fma_f64 v[20:21], -v[16:17], v[18:19], 1.0
	v_fma_f64 v[18:19], v[18:19], v[20:21], v[18:19]
	v_mul_f64 v[20:21], v[22:23], v[18:19]
	v_fma_f64 v[16:17], -v[16:17], v[20:21], v[22:23]
	v_div_fmas_f64 v[16:17], v[16:17], v[18:19], v[20:21]
	v_div_fixup_f64 v[16:17], v[16:17], v[1:2], 0x40140000
	v_mul_f64 v[18:19], v[16:17], v[16:17]
	v_fma_f64 v[20:21], v[18:19], 0, s[0:1]
	s_mov_b32 s0, 0x4c6c651b
	s_mov_b32 s1, 0x3f48f92c
	v_fma_f64 v[22:23], v[18:19], 0, s[34:35]
	v_fma_f64 v[24:25], v[18:19], 0, s[0:1]
	v_fma_f64 v[26:27], v[18:19], 0, s[38:39]
	s_mov_b32 s0, 0xa3fec4b6
	s_mov_b32 s34, 0x5948aa83
	s_mov_b32 s1, 0x3fb2b948
	s_mov_b32 s35, 0x3fb19fdd
	s_mov_b32 s38, 0xa20e5f6f
	s_mov_b32 s39, 0x409081cb
	v_fma_f64 v[20:21], v[18:19], v[20:21], s[36:37]
	s_mov_b32 s36, 0x9acf1c67
	s_mov_b32 s37, 0x4052f4b9
	v_fma_f64 v[22:23], v[18:19], v[22:23], s[34:35]
	v_fma_f64 v[24:25], v[18:19], v[24:25], s[0:1]
	v_fma_f64 v[26:27], v[18:19], v[26:27], s[38:39]
	s_mov_b32 s0, 0xc21596d6
	s_mov_b32 s34, 0xb850eed6
	s_mov_b32 s1, 0x3ff208fe
	s_mov_b32 s35, 0x3ff1aea9
	s_mov_b32 s38, 0x1bfdfe81
	s_mov_b32 s39, 0x40b37a69
	;; [unrolled: 12-line block ×5, first 2 shown]
	v_fma_f64 v[20:21], v[18:19], v[20:21], s[36:37]
	s_mov_b32 s36, 0x4c54bb0b
	s_mov_b32 s37, 0x406a760a
	v_fma_f64 v[22:23], v[18:19], v[22:23], s[34:35]
	v_fma_f64 v[24:25], v[18:19], v[24:25], s[0:1]
	;; [unrolled: 1-line block ×3, first 2 shown]
	s_mov_b32 s0, 0x4d159eb5
	s_mov_b32 s34, 0x6ae75997
	s_mov_b32 s1, 0x403934ff
	s_mov_b32 s35, 0x4075017f
	v_fma_f64 v[20:21], v[18:19], v[20:21], s[36:37]
	s_mov_b32 s36, 0x46cc5e42
	s_mov_b32 s37, 0xbda907db
	v_fma_f64 v[22:23], v[18:19], v[22:23], 1.0
	v_fma_f64 v[24:25], v[18:19], v[24:25], 1.0
	v_fma_f64 v[26:27], v[18:19], v[26:27], s[34:35]
	s_mov_b32 s34, 0xf9a43bb8
	s_mov_b32 s35, 0x3de5e0b2
	v_fma_f64 v[18:19], v[18:19], v[20:21], s[0:1]
	s_mov_b32 s0, 0xb42fdfa7
	s_mov_b32 s1, 0xbe5ae600
	v_div_scale_f64 v[20:21], null, v[22:23], v[22:23], v[24:25]
	v_fma_f64 v[38:39], v[30:31], s[34:35], s[0:1]
	v_fma_f64 v[44:45], v[36:37], s[34:35], s[0:1]
	s_mov_b32 s0, 0x796cde01
	s_mov_b32 s1, 0x3ec71de3
	;; [unrolled: 1-line block ×4, first 2 shown]
	v_div_scale_f64 v[68:69], vcc_lo, v[24:25], v[22:23], v[24:25]
	v_fma_f64 v[46:47], v[30:31], s[36:37], s[34:35]
	v_div_scale_f64 v[28:29], null, v[26:27], v[26:27], v[18:19]
	v_rcp_f64_e32 v[32:33], v[20:21]
	v_fma_f64 v[38:39], v[30:31], v[38:39], s[0:1]
	v_rcp_f64_e32 v[34:35], v[28:29]
	v_fma_f64 v[40:41], -v[20:21], v[32:33], 1.0
	v_fma_f64 v[42:43], -v[28:29], v[34:35], 1.0
	v_fma_f64 v[32:33], v[32:33], v[40:41], v[32:33]
	v_fma_f64 v[40:41], v[36:37], v[44:45], s[0:1]
	v_cmp_gt_f64_e64 s0, 0x10000000, v[1:2]
	v_mul_f64 v[44:45], v[36:37], 0.5
	v_fma_f64 v[34:35], v[34:35], v[42:43], v[34:35]
	v_fma_f64 v[42:43], v[36:37], s[36:37], s[34:35]
	s_mov_b32 s36, 0x19e83e5c
	s_mov_b32 s37, 0xbf2a01a0
	v_fma_f64 v[52:53], -v[20:21], v[32:33], 1.0
	v_fma_f64 v[38:39], v[30:31], v[38:39], s[36:37]
	v_cndmask_b32_e64 v50, 0, 0x100, s0
	s_mov_b32 s34, 0xa17f65f6
	s_mov_b32 s35, 0xbe927e4f
	v_fma_f64 v[40:41], v[36:37], v[40:41], s[36:37]
	v_fma_f64 v[46:47], v[30:31], v[46:47], s[34:35]
	v_ldexp_f64 v[1:2], v[1:2], v50
	v_add_f64 v[50:51], -v[48:49], 1.0
	v_add_f64 v[56:57], -v[44:45], 1.0
	s_mov_b32 s36, 0x19f4ec90
	s_mov_b32 s37, 0x3efa01a0
	v_fma_f64 v[54:55], -v[28:29], v[34:35], 1.0
	v_fma_f64 v[42:43], v[36:37], v[42:43], s[34:35]
	s_mov_b32 s34, 0x11110bb3
	s_mov_b32 s35, 0x3f811111
	v_fma_f64 v[32:33], v[32:33], v[52:53], v[32:33]
	v_fma_f64 v[38:39], v[30:31], v[38:39], s[34:35]
	v_div_scale_f64 v[52:53], s1, v[18:19], v[26:27], v[18:19]
	v_fma_f64 v[40:41], v[36:37], v[40:41], s[34:35]
	v_fma_f64 v[46:47], v[30:31], v[46:47], s[36:37]
	v_rsq_f64_e32 v[58:59], v[1:2]
	v_add_f64 v[64:65], -v[50:51], 1.0
	v_add_f64 v[70:71], -v[56:57], 1.0
	s_mov_b32 s34, 0x16c16967
	s_mov_b32 s35, 0xbf56c16c
	v_fma_f64 v[34:35], v[34:35], v[54:55], v[34:35]
	v_mul_f64 v[54:55], v[9:10], -v[36:37]
	v_fma_f64 v[42:43], v[36:37], v[42:43], s[36:37]
	v_fma_f64 v[38:39], v[62:63], v[38:39], v[60:61]
	v_mul_f64 v[60:61], v[68:69], v[32:33]
	v_fma_f64 v[46:47], v[30:31], v[46:47], s[34:35]
	v_add_f64 v[48:49], v[64:65], -v[48:49]
	v_mul_f64 v[72:73], v[1:2], v[58:59]
	v_mul_f64 v[58:59], v[58:59], 0.5
	v_add_f64 v[44:45], v[70:71], -v[44:45]
	v_mul_f64 v[64:65], v[52:53], v[34:35]
	v_fma_f64 v[40:41], v[54:55], v[40:41], v[66:67]
	v_fma_f64 v[42:43], v[36:37], v[42:43], s[34:35]
	s_mov_b32 s34, 0x55555555
	s_mov_b32 s35, 0x3fa55555
	v_mul_f64 v[66:67], v[30:31], v[30:31]
	v_fma_f64 v[20:21], -v[20:21], v[60:61], v[68:69]
	v_fma_f64 v[46:47], v[30:31], v[46:47], s[34:35]
	v_fma_f64 v[48:49], v[5:6], -v[7:8], v[48:49]
	v_fma_f64 v[7:8], v[30:31], v[38:39], -v[7:8]
	v_fma_f64 v[70:71], -v[58:59], v[72:73], 0.5
	v_mul_f64 v[38:39], v[36:37], v[36:37]
	v_fma_f64 v[28:29], -v[28:29], v[64:65], v[52:53]
	v_fma_f64 v[30:31], v[36:37], v[40:41], -v[11:12]
	v_fma_f64 v[36:37], v[36:37], v[42:43], s[34:35]
	v_fma_f64 v[11:12], v[9:10], -v[11:12], v[44:45]
	s_mov_b32 s35, 0xbfc55555
	v_div_fmas_f64 v[20:21], v[20:21], v[32:33], v[60:61]
	s_mov_b32 vcc_lo, s1
	v_cmp_class_f64_e64 s1, v[3:4], 0x1f8
	v_and_b32_e32 v3, 1, v15
	v_lshlrev_b32_e32 v15, 30, v15
	v_fma_f64 v[42:43], v[66:67], v[46:47], v[48:49]
	v_fma_f64 v[7:8], v[62:63], s[34:35], v[7:8]
	;; [unrolled: 1-line block ×4, first 2 shown]
	v_cmp_eq_u32_e64 s2, 0, v3
	v_div_fmas_f64 v[28:29], v[28:29], v[34:35], v[64:65]
	v_fma_f64 v[30:31], v[54:55], s[34:35], v[30:31]
	v_fma_f64 v[11:12], v[38:39], v[36:37], v[11:12]
	v_add_f64 v[36:37], v[50:51], v[42:43]
	v_add_f64 v[5:6], v[5:6], -v[7:8]
	v_fma_f64 v[34:35], -v[40:41], v[40:41], v[1:2]
	v_div_fixup_f64 v[7:8], v[28:29], v[26:27], v[18:19]
	v_add_f64 v[9:10], v[9:10], -v[30:31]
	v_and_b32_e32 v26, 1, v14
	v_add_f64 v[11:12], v[56:57], v[11:12]
	v_cmp_eq_u32_e32 vcc_lo, 0, v26
	v_cndmask_b32_e32 v5, v36, v5, vcc_lo
	v_fma_f64 v[18:19], v[34:35], v[32:33], v[40:41]
	v_mul_f64 v[7:8], v[16:17], v[7:8]
	v_xor_b32_e32 v3, 0x80000000, v10
	v_and_b32_e32 v10, 0x80000000, v15
	v_cndmask_b32_e64 v11, v9, v11, s2
	v_cndmask_b32_e64 v3, v3, v12, s2
	;; [unrolled: 1-line block ×3, first 2 shown]
	v_xor_b32_e32 v12, v3, v10
	v_cndmask_b32_e64 v3, 0, v5, s1
	v_lshlrev_b32_e32 v5, 30, v14
	v_fma_f64 v[9:10], -v[18:19], v[18:19], v[1:2]
	v_div_fixup_f64 v[14:15], v[20:21], v[22:23], v[24:25]
	v_cndmask_b32_e64 v12, 0x7ff80000, v12, s1
	v_xor_b32_e32 v4, v5, v4
	v_cndmask_b32_e32 v5, v37, v6, vcc_lo
	v_cmp_class_f64_e64 vcc_lo, v[1:2], 0x260
	v_mul_f64 v[7:8], v[7:8], v[11:12]
	v_and_b32_e32 v4, 0x80000000, v4
	v_xor_b32_e32 v4, v5, v4
	v_cndmask_b32_e64 v4, 0x7ff80000, v4, s1
	v_fma_f64 v[5:6], v[9:10], v[32:33], v[18:19]
	v_fma_f64 v[3:4], v[14:15], v[3:4], v[7:8]
	v_cndmask_b32_e64 v7, 0, 0xffffff80, s0
	s_mov_b32 s0, 0x33d43651
	s_mov_b32 s1, 0x3fe98845
	v_ldexp_f64 v[5:6], v[5:6], v7
	v_mul_f64 v[3:4], v[3:4], s[0:1]
	v_cndmask_b32_e32 v2, v6, v2, vcc_lo
	v_cndmask_b32_e32 v1, v5, v1, vcc_lo
	v_div_scale_f64 v[5:6], null, v[1:2], v[1:2], v[3:4]
	v_rcp_f64_e32 v[7:8], v[5:6]
	v_fma_f64 v[9:10], -v[5:6], v[7:8], 1.0
	v_fma_f64 v[7:8], v[7:8], v[9:10], v[7:8]
	v_fma_f64 v[9:10], -v[5:6], v[7:8], 1.0
	v_fma_f64 v[7:8], v[7:8], v[9:10], v[7:8]
	v_div_scale_f64 v[9:10], vcc_lo, v[3:4], v[1:2], v[3:4]
	v_mul_f64 v[11:12], v[9:10], v[7:8]
	v_fma_f64 v[5:6], -v[5:6], v[11:12], v[9:10]
	v_div_fmas_f64 v[5:6], v[5:6], v[7:8], v[11:12]
	v_div_fixup_f64 v[3:4], v[5:6], v[1:2], v[3:4]
.LBB7_162:
	s_or_b32 exec_lo, exec_lo, s3
	v_add_nc_u32_e32 v13, 0x80, v13
	global_store_dwordx2 v0, v[3:4], s[4:5]
	s_or_b32 exec_lo, exec_lo, s30
	s_mov_b32 s30, exec_lo
	v_cmpx_gt_i32_e64 s27, v13
	s_cbranch_execnz .LBB7_15
.LBB7_163:
	s_or_b32 exec_lo, exec_lo, s30
	s_mov_b32 s30, exec_lo
	v_cmpx_gt_i32_e64 s27, v13
	s_cbranch_execz .LBB7_195
.LBB7_164:
	s_andn2_b32 vcc_lo, exec_lo, s24
	s_cbranch_vccnz .LBB7_169
; %bb.165:
	s_andn2_b32 vcc_lo, exec_lo, s29
	s_cbranch_vccnz .LBB7_170
; %bb.166:
	s_add_i32 s33, s28, 1
	s_cmp_eq_u32 s23, 2
	s_cbranch_scc1 .LBB7_198
; %bb.167:
	v_mov_b32_e32 v2, 0
	v_mov_b32_e32 v0, 0
	;; [unrolled: 1-line block ×3, first 2 shown]
	s_and_b32 s31, s33, 28
	s_mov_b32 s34, 0
	s_mov_b64 s[0:1], s[16:17]
	s_mov_b64 s[2:3], s[20:21]
.LBB7_168:                              ; =>This Inner Loop Header: Depth=1
	s_clause 0x1
	s_load_dwordx8 s[36:43], s[0:1], 0x4
	s_load_dwordx4 s[52:55], s[0:1], 0x24
	s_load_dwordx8 s[44:51], s[2:3], 0x0
	s_add_u32 s0, s0, 48
	s_addc_u32 s1, s1, 0
	s_add_i32 s34, s34, 4
	s_add_u32 s2, s2, 32
	s_addc_u32 s3, s3, 0
	s_cmp_eq_u32 s31, s34
	s_waitcnt lgkmcnt(0)
	v_mul_hi_u32 v3, s37, v1
	v_add_nc_u32_e32 v3, v1, v3
	v_lshrrev_b32_e32 v3, s38, v3
	v_mul_hi_u32 v4, s40, v3
	v_mul_lo_u32 v6, v3, s36
	v_add_nc_u32_e32 v4, v3, v4
	v_sub_nc_u32_e32 v1, v1, v6
	v_lshrrev_b32_e32 v4, s41, v4
	v_mul_lo_u32 v6, v1, s44
	v_mul_lo_u32 v8, v1, s45
	v_mul_hi_u32 v5, s43, v4
	v_add_nc_u32_e32 v5, v4, v5
	v_lshrrev_b32_e32 v5, s52, v5
	v_mul_hi_u32 v7, s54, v5
	v_mul_lo_u32 v9, v5, s42
	v_add_nc_u32_e32 v1, v5, v7
	v_mul_lo_u32 v7, v4, s39
	v_sub_nc_u32_e32 v4, v4, v9
	v_lshrrev_b32_e32 v1, s55, v1
	v_mul_lo_u32 v9, v4, s48
	v_mul_lo_u32 v4, v4, s49
	v_sub_nc_u32_e32 v3, v3, v7
	v_mul_lo_u32 v10, v1, s53
	v_mul_lo_u32 v7, v3, s46
	;; [unrolled: 1-line block ×3, first 2 shown]
	v_sub_nc_u32_e32 v5, v5, v10
	v_add3_u32 v0, v6, v0, v7
	v_mul_lo_u32 v10, v5, s50
	v_mul_lo_u32 v5, v5, s51
	v_add3_u32 v2, v8, v2, v3
	v_add3_u32 v0, v9, v0, v10
	;; [unrolled: 1-line block ×3, first 2 shown]
	s_cbranch_scc0 .LBB7_168
	s_branch .LBB7_199
.LBB7_169:
                                        ; implicit-def: $vgpr0
                                        ; implicit-def: $vgpr2
	s_branch .LBB7_203
.LBB7_170:
	v_mov_b32_e32 v0, 0
	v_mov_b32_e32 v2, 0
	s_branch .LBB7_202
.LBB7_171:
	v_mov_b32_e32 v0, 0
	v_mov_b32_e32 v2, 0
	;; [unrolled: 1-line block ×3, first 2 shown]
	s_mov_b32 s31, 0
.LBB7_172:
	s_and_b32 s33, s33, 3
	s_cmp_eq_u32 s33, 0
	s_cbranch_scc1 .LBB7_175
; %bb.173:
	s_lshl_b32 s0, s31, 3
	s_mul_i32 s2, s31, 12
	s_add_u32 s0, s16, s0
	s_addc_u32 s1, s17, 0
	s_add_u32 s0, s0, 0xc4
	s_addc_u32 s1, s1, 0
	;; [unrolled: 2-line block ×3, first 2 shown]
	.p2align	6
.LBB7_174:                              ; =>This Inner Loop Header: Depth=1
	s_clause 0x1
	s_load_dwordx2 s[34:35], s[2:3], 0x4
	s_load_dword s31, s[2:3], 0xc
	s_load_dwordx2 s[36:37], s[0:1], 0x0
	s_add_u32 s2, s2, 12
	s_addc_u32 s3, s3, 0
	s_add_u32 s0, s0, 8
	s_addc_u32 s1, s1, 0
	s_add_i32 s33, s33, -1
	s_cmp_lg_u32 s33, 0
	s_waitcnt lgkmcnt(0)
	v_mul_hi_u32 v3, s35, v1
	v_add_nc_u32_e32 v3, v1, v3
	v_lshrrev_b32_e32 v4, s31, v3
	v_mul_lo_u32 v3, v4, s34
	v_sub_nc_u32_e32 v3, v1, v3
	v_mad_u64_u32 v[0:1], null, v3, s36, v[0:1]
	v_mad_u64_u32 v[2:3], null, v3, s37, v[2:3]
	v_mov_b32_e32 v1, v4
	s_cbranch_scc1 .LBB7_174
.LBB7_175:
	s_cbranch_execnz .LBB7_178
.LBB7_176:
	s_waitcnt lgkmcnt(0)
	v_mul_hi_u32 v0, s13, v13
	s_andn2_b32 vcc_lo, exec_lo, s26
	v_add_nc_u32_e32 v0, v13, v0
	v_lshrrev_b32_e32 v1, s14, v0
	v_mul_lo_u32 v0, v1, s12
	v_sub_nc_u32_e32 v2, v13, v0
	v_mul_lo_u32 v0, v2, s8
	v_mul_lo_u32 v2, v2, s9
	s_cbranch_vccnz .LBB7_178
; %bb.177:
	v_mul_hi_u32 v3, s18, v1
	v_add_nc_u32_e32 v3, v1, v3
	v_lshrrev_b32_e32 v3, s19, v3
	v_mul_lo_u32 v3, v3, s15
	v_sub_nc_u32_e32 v3, v1, v3
	v_mad_u64_u32 v[0:1], null, v3, s10, v[0:1]
	v_mad_u64_u32 v[2:3], null, v3, s11, v[2:3]
.LBB7_178:
	s_waitcnt lgkmcnt(0)
	global_load_dwordx2 v[1:2], v2, s[6:7]
                                        ; implicit-def: $vgpr3_vgpr4
	s_mov_b32 s0, exec_lo
	s_waitcnt vmcnt(0)
	v_cmpx_ge_f64_e32 0x40140000, v[1:2]
	s_xor_b32 s2, exec_lo, s0
	s_cbranch_execz .LBB7_184
; %bb.179:
	v_mov_b32_e32 v3, 0
	v_mov_b32_e32 v4, 0xfff00000
	s_mov_b32 s3, exec_lo
	v_cmpx_neq_f64_e32 0, v[1:2]
	s_cbranch_execz .LBB7_183
; %bb.180:
	v_mov_b32_e32 v3, 0
	v_mov_b32_e32 v4, 0x7ff80000
	s_mov_b32 s31, exec_lo
	v_cmpx_nge_f64_e32 0, v[1:2]
	s_cbranch_execz .LBB7_182
; %bb.181:
	v_frexp_mant_f64_e32 v[3:4], v[1:2]
	s_mov_b32 s1, 0x3fe55555
	s_mov_b32 s0, 0x55555555
	s_mov_b32 s34, 0x6b47b09a
	s_mov_b32 s36, 0xbf559e2b
	s_mov_b32 s35, 0x3fc38538
	s_mov_b32 s37, 0x3fc3ab76
	s_mov_b32 s38, 0xdc92a1b1
	s_mov_b32 s39, 0x4193e954
	v_frexp_exp_i32_f64_e32 v26, v[1:2]
	s_mov_b32 s40, 0xfefa39ef
	s_mov_b32 s41, 0x3fe62e42
	v_cmp_gt_f64_e32 vcc_lo, s[0:1], v[3:4]
	s_mov_b32 s0, 0x55555780
	v_cndmask_b32_e64 v5, 0, 1, vcc_lo
	v_ldexp_f64 v[3:4], v[3:4], v5
	v_add_f64 v[5:6], v[3:4], 1.0
	v_add_f64 v[11:12], v[3:4], -1.0
	v_rcp_f64_e32 v[7:8], v[5:6]
	v_add_f64 v[14:15], v[5:6], -1.0
	v_add_f64 v[3:4], v[3:4], -v[14:15]
	v_fma_f64 v[9:10], -v[5:6], v[7:8], 1.0
	v_fma_f64 v[7:8], v[9:10], v[7:8], v[7:8]
	v_fma_f64 v[9:10], -v[5:6], v[7:8], 1.0
	v_fma_f64 v[7:8], v[9:10], v[7:8], v[7:8]
	v_mul_f64 v[9:10], v[11:12], v[7:8]
	v_mul_f64 v[16:17], v[5:6], v[9:10]
	v_fma_f64 v[5:6], v[9:10], v[5:6], -v[16:17]
	v_fma_f64 v[3:4], v[9:10], v[3:4], v[5:6]
	v_add_f64 v[5:6], v[16:17], v[3:4]
	v_add_f64 v[14:15], v[11:12], -v[5:6]
	v_add_f64 v[16:17], v[5:6], -v[16:17]
	;; [unrolled: 1-line block ×5, first 2 shown]
	v_add_f64 v[3:4], v[3:4], v[5:6]
	v_add_f64 v[3:4], v[14:15], v[3:4]
	v_mul_f64 v[14:15], v[1:2], v[1:2]
	v_mul_f64 v[3:4], v[7:8], v[3:4]
	v_add_f64 v[5:6], v[9:10], v[3:4]
	v_mul_f64 v[7:8], v[5:6], v[5:6]
	v_ldexp_f64 v[24:25], v[5:6], 1
	v_fma_f64 v[11:12], v[7:8], s[36:37], s[34:35]
	s_mov_b32 s34, 0xd7f4df2e
	s_mov_b32 s35, 0x3fc7474d
	;; [unrolled: 1-line block ×4, first 2 shown]
	v_mul_f64 v[22:23], v[5:6], v[7:8]
	v_fma_f64 v[18:19], v[14:15], 0, s[36:37]
	s_mov_b32 s36, 0xdd701b2
	s_mov_b32 s37, 0x410f5eda
	v_add_f64 v[5:6], v[5:6], -v[9:10]
	v_fma_f64 v[11:12], v[7:8], v[11:12], s[34:35]
	s_mov_b32 s34, 0xa93f7ac2
	s_mov_b32 s35, 0x40829269
	v_fma_f64 v[16:17], v[14:15], 0, s[34:35]
	s_mov_b32 s34, 0x16291751
	s_mov_b32 s35, 0x3fcc71c0
	;; [unrolled: 3-line block ×3, first 2 shown]
	v_add_f64 v[3:4], v[3:4], -v[5:6]
	v_fma_f64 v[11:12], v[7:8], v[11:12], s[34:35]
	s_mov_b32 s34, 0xbe58ef7f
	s_mov_b32 s35, 0x410cc160
	v_fma_f64 v[16:17], v[14:15], v[16:17], s[34:35]
	s_mov_b32 s34, 0x9b27acf1
	s_mov_b32 s35, 0x3fd24924
	;; [unrolled: 3-line block ×3, first 2 shown]
	v_ldexp_f64 v[3:4], v[3:4], 1
	v_fma_f64 v[11:12], v[7:8], v[11:12], s[34:35]
	s_mov_b32 s34, 0x62f9b6c5
	s_mov_b32 s35, 0x41d2d2be
	v_fma_f64 v[20:21], v[14:15], 0, s[34:35]
	v_fma_f64 v[16:17], v[14:15], v[16:17], s[36:37]
	s_mov_b32 s34, 0x998ef7b6
	s_mov_b32 s35, 0x3fd99999
	s_mov_b32 s36, 0x906b7b83
	s_mov_b32 s37, 0x421178c3
	v_fma_f64 v[18:19], v[14:15], v[18:19], s[38:39]
	s_mov_b32 s38, 0x8076ffa8
	s_mov_b32 s39, 0x429146fb
	v_fma_f64 v[11:12], v[7:8], v[11:12], s[34:35]
	s_mov_b32 s34, 0x58836521
	s_mov_b32 s35, 0xc262d72d
	v_fma_f64 v[20:21], v[14:15], v[20:21], s[34:35]
	v_fma_f64 v[16:17], v[14:15], v[16:17], s[36:37]
	s_mov_b32 s34, 0xfda99316
	s_mov_b32 s36, 0x4cda4fc5
	;; [unrolled: 1-line block ×4, first 2 shown]
	v_fma_f64 v[18:19], v[14:15], v[18:19], s[38:39]
	s_mov_b32 s38, 0x3eccf45f
	s_mov_b32 s39, 0x43064b0a
	v_fma_f64 v[7:8], v[7:8], v[11:12], s[0:1]
	s_mov_b32 s0, 0xb0910fef
	s_mov_b32 s1, 0x42da0954
	v_fma_f64 v[11:12], v[14:15], v[20:21], s[0:1]
	v_fma_f64 v[16:17], v[14:15], v[16:17], s[34:35]
	v_fma_f64 v[20:21], v[14:15], 0, s[36:37]
	s_mov_b32 s0, 0x37a1b083
	s_mov_b32 s34, 0xd71d1e4e
	;; [unrolled: 1-line block ×6, first 2 shown]
	v_fma_f64 v[18:19], v[14:15], v[18:19], s[38:39]
	s_mov_b32 s38, 0xf4653f81
	s_mov_b32 s39, 0x4373e0bf
	v_mul_f64 v[7:8], v[22:23], v[7:8]
	v_subrev_co_ci_u32_e64 v22, null, 0, v26, vcc_lo
	v_fma_f64 v[11:12], v[14:15], v[11:12], s[0:1]
	v_fma_f64 v[16:17], v[14:15], v[16:17], s[34:35]
	;; [unrolled: 1-line block ×3, first 2 shown]
	v_cvt_f64_i32_e32 v[22:23], v22
	s_mov_b32 s0, 0xb7366b1
	s_mov_b32 s34, 0xc547a488
	;; [unrolled: 1-line block ×6, first 2 shown]
	v_fma_f64 v[18:19], v[14:15], v[18:19], s[38:39]
	s_mov_b32 s38, 0xa697c482
	s_mov_b32 s39, 0x432a2b42
	v_add_f64 v[9:10], v[24:25], v[7:8]
	v_fma_f64 v[11:12], v[14:15], v[11:12], s[0:1]
	v_fma_f64 v[16:17], v[14:15], v[16:17], s[34:35]
	;; [unrolled: 1-line block ×3, first 2 shown]
	v_mul_f64 v[26:27], v[22:23], s[40:41]
	s_mov_b32 s0, 0x90f6747f
	s_mov_b32 s34, 0x5dde2b17
	;; [unrolled: 1-line block ×6, first 2 shown]
	v_add_f64 v[5:6], v[9:10], -v[24:25]
	v_fma_f64 v[11:12], v[14:15], v[11:12], s[34:35]
	v_fma_f64 v[16:17], v[14:15], v[16:17], s[0:1]
	;; [unrolled: 1-line block ×4, first 2 shown]
	v_fma_f64 v[18:19], v[22:23], s[40:41], -v[26:27]
	s_mov_b32 s0, 0x3b39803f
	s_mov_b32 s1, 0x3c7abc9e
	v_add_f64 v[5:6], v[7:8], -v[5:6]
	v_div_scale_f64 v[7:8], null, v[16:17], v[16:17], v[11:12]
	v_div_scale_f64 v[24:25], null, v[14:15], v[14:15], v[20:21]
	v_fma_f64 v[18:19], v[22:23], s[0:1], v[18:19]
	v_add_f64 v[3:4], v[3:4], v[5:6]
	v_rcp_f64_e32 v[5:6], v[7:8]
	v_rcp_f64_e32 v[22:23], v[24:25]
	v_add_f64 v[28:29], v[26:27], v[18:19]
	v_add_f64 v[30:31], v[9:10], v[3:4]
	v_fma_f64 v[32:33], -v[7:8], v[5:6], 1.0
	v_fma_f64 v[34:35], -v[24:25], v[22:23], 1.0
	v_add_f64 v[26:27], v[28:29], -v[26:27]
	v_add_f64 v[36:37], v[28:29], v[30:31]
	v_add_f64 v[9:10], v[30:31], -v[9:10]
	v_fma_f64 v[5:6], v[5:6], v[32:33], v[5:6]
	v_fma_f64 v[22:23], v[22:23], v[34:35], v[22:23]
	v_div_scale_f64 v[34:35], null, v[1:2], v[1:2], -1.0
	v_add_f64 v[18:19], v[18:19], -v[26:27]
	v_div_scale_f64 v[26:27], vcc_lo, v[11:12], v[16:17], v[11:12]
	v_add_f64 v[32:33], v[36:37], -v[28:29]
	v_add_f64 v[3:4], v[3:4], -v[9:10]
	v_fma_f64 v[38:39], -v[7:8], v[5:6], 1.0
	v_fma_f64 v[40:41], -v[24:25], v[22:23], 1.0
	v_rcp_f64_e32 v[44:45], v[34:35]
	v_add_f64 v[42:43], v[36:37], -v[32:33]
	v_add_f64 v[9:10], v[30:31], -v[32:33]
	v_fma_f64 v[5:6], v[5:6], v[38:39], v[5:6]
	v_div_scale_f64 v[38:39], s0, v[20:21], v[14:15], v[20:21]
	v_fma_f64 v[22:23], v[22:23], v[40:41], v[22:23]
	v_fma_f64 v[30:31], -v[34:35], v[44:45], 1.0
	v_add_f64 v[28:29], v[28:29], -v[42:43]
	v_add_f64 v[42:43], v[18:19], v[3:4]
	v_mul_f64 v[32:33], v[26:27], v[5:6]
	v_mul_f64 v[40:41], v[38:39], v[22:23]
	v_add_f64 v[9:10], v[9:10], v[28:29]
	v_fma_f64 v[28:29], v[44:45], v[30:31], v[44:45]
	v_fma_f64 v[7:8], -v[7:8], v[32:33], v[26:27]
	v_add_f64 v[26:27], v[42:43], -v[18:19]
	v_fma_f64 v[24:25], -v[24:25], v[40:41], v[38:39]
	v_add_f64 v[9:10], v[42:43], v[9:10]
	v_fma_f64 v[30:31], -v[34:35], v[28:29], 1.0
	v_div_fmas_f64 v[5:6], v[7:8], v[5:6], v[32:33]
	s_mov_b32 vcc_lo, s0
	v_add_f64 v[3:4], v[3:4], -v[26:27]
	v_div_fmas_f64 v[7:8], v[24:25], v[22:23], v[40:41]
	v_add_f64 v[22:23], v[42:43], -v[26:27]
	v_div_scale_f64 v[32:33], vcc_lo, -1.0, v[1:2], -1.0
	s_mov_b32 s0, 0x4189822c
	s_mov_b32 s1, 0xc02d5d2b
	v_add_f64 v[24:25], v[36:37], v[9:10]
	v_fma_f64 v[28:29], v[28:29], v[30:31], v[28:29]
	v_div_fixup_f64 v[5:6], v[5:6], v[16:17], v[11:12]
	v_div_fixup_f64 v[7:8], v[7:8], v[14:15], v[20:21]
	v_add_f64 v[14:15], v[18:19], -v[22:23]
	v_fma_f64 v[22:23], v[1:2], v[1:2], s[0:1]
	s_mov_b32 s0, 0x6072a432
	s_mov_b32 s1, 0xc0489bf6
	v_add_f64 v[18:19], v[24:25], -v[36:37]
	v_mul_f64 v[20:21], v[32:33], v[28:29]
	v_mul_f64 v[7:8], v[1:2], v[7:8]
	v_add_f64 v[3:4], v[3:4], v[14:15]
	v_add_f64 v[9:10], v[9:10], -v[18:19]
	v_fma_f64 v[14:15], -v[34:35], v[20:21], v[32:33]
	v_fma_f64 v[18:19], v[1:2], v[1:2], s[0:1]
	s_mov_b32 s0, 0x6dc9c883
	s_mov_b32 s1, 0x3fe45f30
	v_mul_f64 v[7:8], v[22:23], v[7:8]
	v_add_f64 v[3:4], v[3:4], v[9:10]
	v_div_fmas_f64 v[9:10], v[14:15], v[28:29], v[20:21]
	v_mul_f64 v[7:8], v[18:19], v[7:8]
	v_add_f64 v[3:4], v[24:25], v[3:4]
	v_div_fixup_f64 v[9:10], v[9:10], v[1:2], -1.0
	v_fma_f64 v[3:4], v[7:8], v[3:4], v[9:10]
	v_mul_f64 v[3:4], v[3:4], s[0:1]
	v_fma_f64 v[3:4], v[1:2], v[5:6], v[3:4]
.LBB7_182:
	s_or_b32 exec_lo, exec_lo, s31
.LBB7_183:
	s_or_b32 exec_lo, exec_lo, s3
                                        ; implicit-def: $vgpr1_vgpr2
.LBB7_184:
	s_andn2_saveexec_b32 s3, s2
	s_cbranch_execz .LBB7_194
; %bb.185:
	s_mov_b32 s0, 0x7f3321d2
	s_mov_b32 s1, 0xc002d97c
                                        ; implicit-def: $vgpr14
                                        ; implicit-def: $vgpr5_vgpr6
                                        ; implicit-def: $vgpr7_vgpr8
	v_add_f64 v[3:4], v[1:2], s[0:1]
	v_cmp_ngt_f64_e64 s0, 0x41d00000, |v[3:4]|
	s_and_saveexec_b32 s1, s0
	s_xor_b32 s1, exec_lo, s1
	s_cbranch_execz .LBB7_187
; %bb.186:
	v_ldexp_f64 v[5:6], |v[3:4]|, 0xffffff80
	v_cmp_le_f64_e64 vcc_lo, 0x7b000000, |v[3:4]|
	v_trig_preop_f64 v[7:8], |v[3:4]|, 0
	v_and_b32_e32 v9, 0x7fffffff, v4
	v_trig_preop_f64 v[20:21], |v[3:4]|, 2
	v_mov_b32_e32 v28, 0
	s_mov_b32 s34, 0x54442d18
	s_mov_b32 s35, 0x3ff921fb
	;; [unrolled: 1-line block ×4, first 2 shown]
	v_cndmask_b32_e32 v6, v9, v6, vcc_lo
	v_cndmask_b32_e32 v5, v3, v5, vcc_lo
	v_trig_preop_f64 v[9:10], |v[3:4]|, 1
	v_mul_f64 v[11:12], v[7:8], v[5:6]
	v_mul_f64 v[26:27], v[20:21], v[5:6]
	;; [unrolled: 1-line block ×3, first 2 shown]
	v_fma_f64 v[7:8], v[7:8], v[5:6], -v[11:12]
	v_fma_f64 v[9:10], v[9:10], v[5:6], -v[14:15]
	;; [unrolled: 1-line block ×3, first 2 shown]
	v_add_f64 v[16:17], v[14:15], v[7:8]
	v_add_f64 v[18:19], v[16:17], -v[14:15]
	v_add_f64 v[24:25], v[11:12], v[16:17]
	v_add_f64 v[22:23], v[16:17], -v[18:19]
	v_add_f64 v[7:8], v[7:8], -v[18:19]
	v_ldexp_f64 v[18:19], v[24:25], -2
	v_add_f64 v[11:12], v[24:25], -v[11:12]
	v_add_f64 v[14:15], v[14:15], -v[22:23]
	v_add_f64 v[22:23], v[26:27], v[9:10]
	v_cmp_neq_f64_e64 vcc_lo, 0x7ff00000, |v[18:19]|
	v_add_f64 v[11:12], v[16:17], -v[11:12]
	v_add_f64 v[7:8], v[7:8], v[14:15]
	v_fract_f64_e32 v[14:15], v[18:19]
	v_add_f64 v[16:17], v[22:23], v[7:8]
	v_ldexp_f64 v[14:15], v[14:15], 2
	v_add_f64 v[18:19], v[11:12], v[16:17]
	v_cndmask_b32_e32 v15, 0, v15, vcc_lo
	v_cndmask_b32_e32 v14, 0, v14, vcc_lo
	v_add_f64 v[24:25], v[18:19], v[14:15]
	v_add_f64 v[11:12], v[18:19], -v[11:12]
	v_cmp_gt_f64_e32 vcc_lo, 0, v[24:25]
	v_add_f64 v[24:25], v[22:23], -v[26:27]
	v_add_f64 v[11:12], v[16:17], -v[11:12]
	v_cndmask_b32_e64 v29, 0, 0x40100000, vcc_lo
	v_add_f64 v[33:34], v[22:23], -v[24:25]
	v_add_f64 v[9:10], v[9:10], -v[24:25]
	v_add_f64 v[14:15], v[14:15], v[28:29]
	v_add_f64 v[29:30], v[16:17], -v[22:23]
	v_add_f64 v[24:25], v[26:27], -v[33:34]
	v_add_f64 v[31:32], v[18:19], v[14:15]
	;; [unrolled: 3-line block ×3, first 2 shown]
	v_cvt_i32_f64_e32 v31, v[31:32]
	v_add_f64 v[22:23], v[22:23], -v[35:36]
	v_cvt_f64_i32_e32 v[29:30], v31
	v_add_f64 v[7:8], v[7:8], v[22:23]
	v_add_f64 v[14:15], v[14:15], -v[29:30]
	v_add_f64 v[7:8], v[9:10], v[7:8]
	v_add_f64 v[9:10], v[18:19], v[14:15]
	;; [unrolled: 1-line block ×3, first 2 shown]
	v_add_f64 v[7:8], v[9:10], -v[14:15]
	v_cmp_le_f64_e32 vcc_lo, 0.5, v[9:10]
	v_add_f64 v[5:6], v[11:12], v[5:6]
	v_add_f64 v[7:8], v[18:19], -v[7:8]
	v_cndmask_b32_e64 v29, 0, 0x3ff00000, vcc_lo
	v_add_co_ci_u32_e64 v14, null, 0, v31, vcc_lo
	v_add_f64 v[5:6], v[5:6], v[7:8]
	v_add_f64 v[7:8], v[9:10], -v[28:29]
	v_add_f64 v[9:10], v[7:8], v[5:6]
	v_mul_f64 v[11:12], v[9:10], s[34:35]
	v_add_f64 v[7:8], v[9:10], -v[7:8]
	v_fma_f64 v[15:16], v[9:10], s[34:35], -v[11:12]
	v_add_f64 v[5:6], v[5:6], -v[7:8]
	v_fma_f64 v[7:8], v[9:10], s[36:37], v[15:16]
	v_fma_f64 v[7:8], v[5:6], s[34:35], v[7:8]
	v_add_f64 v[5:6], v[11:12], v[7:8]
	v_add_f64 v[9:10], v[5:6], -v[11:12]
	v_add_f64 v[7:8], v[7:8], -v[9:10]
	s_andn2_saveexec_b32 s1, s1
	s_cbranch_execz .LBB7_189
	s_branch .LBB7_188
.LBB7_187:
	s_andn2_saveexec_b32 s1, s1
	s_cbranch_execz .LBB7_189
.LBB7_188:
	s_mov_b32 s34, 0x6dc9c883
	s_mov_b32 s35, 0x3fe45f30
	;; [unrolled: 1-line block ×3, first 2 shown]
	v_mul_f64 v[5:6], |v[3:4]|, s[34:35]
	s_mov_b32 s34, 0x54442d18
	s_mov_b32 s35, 0xbff921fb
	;; [unrolled: 1-line block ×3, first 2 shown]
	v_rndne_f64_e32 v[9:10], v[5:6]
	v_fma_f64 v[5:6], v[9:10], s[34:35], |v[3:4]|
	v_mul_f64 v[7:8], v[9:10], s[36:37]
	s_mov_b32 s34, 0x252049c0
	s_mov_b32 s35, 0xb97b839a
	v_fma_f64 v[14:15], v[9:10], s[36:37], v[5:6]
	v_add_f64 v[11:12], v[5:6], v[7:8]
	s_mov_b32 s37, 0x3c91a626
	v_add_f64 v[5:6], v[5:6], -v[11:12]
	v_add_f64 v[11:12], v[11:12], -v[14:15]
	v_add_f64 v[5:6], v[5:6], v[7:8]
	v_fma_f64 v[7:8], v[9:10], s[36:37], v[7:8]
	v_add_f64 v[5:6], v[11:12], v[5:6]
	v_add_f64 v[5:6], v[5:6], -v[7:8]
	v_fma_f64 v[7:8], v[9:10], s[34:35], v[5:6]
	v_add_f64 v[5:6], v[14:15], v[7:8]
	v_add_f64 v[11:12], v[5:6], -v[14:15]
	v_cvt_i32_f64_e32 v14, v[9:10]
	v_add_f64 v[7:8], v[7:8], -v[11:12]
.LBB7_189:
	s_or_b32 exec_lo, exec_lo, s1
                                        ; implicit-def: $vgpr15
                                        ; implicit-def: $vgpr9_vgpr10
                                        ; implicit-def: $vgpr11_vgpr12
	s_and_saveexec_b32 s1, s0
	s_xor_b32 s0, exec_lo, s1
	s_cbranch_execz .LBB7_191
; %bb.190:
	v_ldexp_f64 v[9:10], |v[3:4]|, 0xffffff80
	v_cmp_le_f64_e64 vcc_lo, 0x7b000000, |v[3:4]|
	v_trig_preop_f64 v[11:12], |v[3:4]|, 0
	v_and_b32_e32 v15, 0x7fffffff, v4
	v_trig_preop_f64 v[25:26], |v[3:4]|, 2
	v_mov_b32_e32 v33, 0
	s_mov_b32 s34, 0x54442d18
	s_mov_b32 s35, 0x3ff921fb
	;; [unrolled: 1-line block ×4, first 2 shown]
	v_cndmask_b32_e32 v10, v15, v10, vcc_lo
	v_cndmask_b32_e32 v9, v3, v9, vcc_lo
	v_trig_preop_f64 v[15:16], |v[3:4]|, 1
	v_mul_f64 v[17:18], v[11:12], v[9:10]
	v_mul_f64 v[31:32], v[25:26], v[9:10]
	;; [unrolled: 1-line block ×3, first 2 shown]
	v_fma_f64 v[11:12], v[11:12], v[9:10], -v[17:18]
	v_fma_f64 v[15:16], v[15:16], v[9:10], -v[19:20]
	;; [unrolled: 1-line block ×3, first 2 shown]
	v_add_f64 v[21:22], v[19:20], v[11:12]
	v_add_f64 v[23:24], v[21:22], -v[19:20]
	v_add_f64 v[29:30], v[17:18], v[21:22]
	v_add_f64 v[27:28], v[21:22], -v[23:24]
	v_add_f64 v[11:12], v[11:12], -v[23:24]
	v_ldexp_f64 v[23:24], v[29:30], -2
	v_add_f64 v[17:18], v[29:30], -v[17:18]
	v_add_f64 v[19:20], v[19:20], -v[27:28]
	v_add_f64 v[27:28], v[31:32], v[15:16]
	v_cmp_neq_f64_e64 vcc_lo, 0x7ff00000, |v[23:24]|
	v_add_f64 v[17:18], v[21:22], -v[17:18]
	v_add_f64 v[11:12], v[11:12], v[19:20]
	v_fract_f64_e32 v[19:20], v[23:24]
	v_add_f64 v[21:22], v[27:28], v[11:12]
	v_ldexp_f64 v[19:20], v[19:20], 2
	v_add_f64 v[23:24], v[17:18], v[21:22]
	v_cndmask_b32_e32 v20, 0, v20, vcc_lo
	v_cndmask_b32_e32 v19, 0, v19, vcc_lo
	v_add_f64 v[29:30], v[23:24], v[19:20]
	v_add_f64 v[17:18], v[23:24], -v[17:18]
	v_cmp_gt_f64_e32 vcc_lo, 0, v[29:30]
	v_add_f64 v[29:30], v[27:28], -v[31:32]
	v_cndmask_b32_e64 v34, 0, 0x40100000, vcc_lo
	v_add_f64 v[38:39], v[27:28], -v[29:30]
	v_add_f64 v[15:16], v[15:16], -v[29:30]
	v_add_f64 v[19:20], v[19:20], v[33:34]
	v_add_f64 v[34:35], v[21:22], -v[27:28]
	v_add_f64 v[29:30], v[31:32], -v[38:39]
	v_add_f64 v[36:37], v[23:24], v[19:20]
	;; [unrolled: 3-line block ×3, first 2 shown]
	v_cvt_i32_f64_e32 v36, v[36:37]
	v_add_f64 v[27:28], v[27:28], -v[40:41]
	v_cvt_f64_i32_e32 v[34:35], v36
	v_add_f64 v[11:12], v[11:12], v[27:28]
	v_add_f64 v[19:20], v[19:20], -v[34:35]
	v_add_f64 v[11:12], v[15:16], v[11:12]
	v_add_f64 v[15:16], v[21:22], -v[17:18]
	v_add_f64 v[25:26], v[23:24], v[19:20]
	v_add_f64 v[9:10], v[9:10], v[11:12]
	v_add_f64 v[11:12], v[25:26], -v[19:20]
	v_cmp_le_f64_e32 vcc_lo, 0.5, v[25:26]
	v_add_f64 v[9:10], v[15:16], v[9:10]
	v_add_f64 v[11:12], v[23:24], -v[11:12]
	v_cndmask_b32_e64 v34, 0, 0x3ff00000, vcc_lo
	v_add_co_ci_u32_e64 v15, null, 0, v36, vcc_lo
	v_add_f64 v[9:10], v[9:10], v[11:12]
	v_add_f64 v[11:12], v[25:26], -v[33:34]
	v_add_f64 v[16:17], v[11:12], v[9:10]
	v_mul_f64 v[18:19], v[16:17], s[34:35]
	v_add_f64 v[11:12], v[16:17], -v[11:12]
	v_fma_f64 v[20:21], v[16:17], s[34:35], -v[18:19]
	v_add_f64 v[9:10], v[9:10], -v[11:12]
	v_fma_f64 v[11:12], v[16:17], s[36:37], v[20:21]
	v_fma_f64 v[11:12], v[9:10], s[34:35], v[11:12]
	v_add_f64 v[9:10], v[18:19], v[11:12]
	v_add_f64 v[16:17], v[9:10], -v[18:19]
	v_add_f64 v[11:12], v[11:12], -v[16:17]
	s_andn2_saveexec_b32 s0, s0
	s_cbranch_execnz .LBB7_192
	s_branch .LBB7_193
.LBB7_191:
	s_andn2_saveexec_b32 s0, s0
	s_cbranch_execz .LBB7_193
.LBB7_192:
	s_mov_b32 s34, 0x6dc9c883
	s_mov_b32 s35, 0x3fe45f30
	;; [unrolled: 1-line block ×3, first 2 shown]
	v_mul_f64 v[9:10], |v[3:4]|, s[34:35]
	s_mov_b32 s34, 0x54442d18
	s_mov_b32 s35, 0xbff921fb
	;; [unrolled: 1-line block ×3, first 2 shown]
	v_rndne_f64_e32 v[15:16], v[9:10]
	v_fma_f64 v[9:10], v[15:16], s[34:35], |v[3:4]|
	v_mul_f64 v[11:12], v[15:16], s[36:37]
	s_mov_b32 s34, 0x252049c0
	s_mov_b32 s35, 0xb97b839a
	v_fma_f64 v[19:20], v[15:16], s[36:37], v[9:10]
	v_add_f64 v[17:18], v[9:10], v[11:12]
	s_mov_b32 s37, 0x3c91a626
	v_add_f64 v[9:10], v[9:10], -v[17:18]
	v_add_f64 v[17:18], v[17:18], -v[19:20]
	v_add_f64 v[9:10], v[9:10], v[11:12]
	v_fma_f64 v[11:12], v[15:16], s[36:37], v[11:12]
	v_add_f64 v[9:10], v[17:18], v[9:10]
	v_add_f64 v[9:10], v[9:10], -v[11:12]
	v_fma_f64 v[11:12], v[15:16], s[34:35], v[9:10]
	v_cvt_i32_f64_e32 v15, v[15:16]
	v_add_f64 v[9:10], v[19:20], v[11:12]
	v_add_f64 v[17:18], v[9:10], -v[19:20]
	v_add_f64 v[11:12], v[11:12], -v[17:18]
.LBB7_193:
	s_or_b32 exec_lo, exec_lo, s0
	v_div_scale_f64 v[16:17], null, v[1:2], v[1:2], 0x40140000
	v_div_scale_f64 v[22:23], vcc_lo, 0x40140000, v[1:2], 0x40140000
	s_mov_b32 s0, 0x6b70ba40
	s_mov_b32 s1, 0x3faa27fa
	;; [unrolled: 1-line block ×8, first 2 shown]
	v_mul_f64 v[30:31], v[5:6], v[5:6]
	v_mul_f64 v[36:37], v[9:10], v[9:10]
	v_mul_f64 v[60:61], v[7:8], 0.5
	v_mul_f64 v[66:67], v[11:12], 0.5
	v_rcp_f64_e32 v[18:19], v[16:17]
	v_mul_f64 v[48:49], v[30:31], 0.5
	v_mul_f64 v[62:63], v[5:6], -v[30:31]
	v_fma_f64 v[20:21], -v[16:17], v[18:19], 1.0
	v_fma_f64 v[18:19], v[18:19], v[20:21], v[18:19]
	v_fma_f64 v[20:21], -v[16:17], v[18:19], 1.0
	v_fma_f64 v[18:19], v[18:19], v[20:21], v[18:19]
	v_mul_f64 v[20:21], v[22:23], v[18:19]
	v_fma_f64 v[16:17], -v[16:17], v[20:21], v[22:23]
	v_div_fmas_f64 v[16:17], v[16:17], v[18:19], v[20:21]
	v_div_fixup_f64 v[16:17], v[16:17], v[1:2], 0x40140000
	v_mul_f64 v[18:19], v[16:17], v[16:17]
	v_fma_f64 v[20:21], v[18:19], 0, s[0:1]
	s_mov_b32 s0, 0x4c6c651b
	s_mov_b32 s1, 0x3f48f92c
	v_fma_f64 v[22:23], v[18:19], 0, s[34:35]
	v_fma_f64 v[24:25], v[18:19], 0, s[0:1]
	v_fma_f64 v[26:27], v[18:19], 0, s[38:39]
	s_mov_b32 s0, 0xa3fec4b6
	s_mov_b32 s34, 0x5948aa83
	s_mov_b32 s1, 0x3fb2b948
	s_mov_b32 s35, 0x3fb19fdd
	s_mov_b32 s38, 0xa20e5f6f
	s_mov_b32 s39, 0x409081cb
	v_fma_f64 v[20:21], v[18:19], v[20:21], s[36:37]
	s_mov_b32 s36, 0x9acf1c67
	s_mov_b32 s37, 0x4052f4b9
	v_fma_f64 v[22:23], v[18:19], v[22:23], s[34:35]
	v_fma_f64 v[24:25], v[18:19], v[24:25], s[0:1]
	v_fma_f64 v[26:27], v[18:19], v[26:27], s[38:39]
	s_mov_b32 s0, 0xc21596d6
	s_mov_b32 s34, 0xb850eed6
	s_mov_b32 s1, 0x3ff208fe
	s_mov_b32 s35, 0x3ff1aea9
	s_mov_b32 s38, 0x1bfdfe81
	s_mov_b32 s39, 0x40b37a69
	;; [unrolled: 12-line block ×5, first 2 shown]
	v_fma_f64 v[20:21], v[18:19], v[20:21], s[36:37]
	s_mov_b32 s36, 0x4c54bb0b
	s_mov_b32 s37, 0x406a760a
	v_fma_f64 v[22:23], v[18:19], v[22:23], s[34:35]
	v_fma_f64 v[24:25], v[18:19], v[24:25], s[0:1]
	v_fma_f64 v[26:27], v[18:19], v[26:27], s[38:39]
	s_mov_b32 s0, 0x4d159eb5
	s_mov_b32 s34, 0x6ae75997
	;; [unrolled: 1-line block ×4, first 2 shown]
	v_fma_f64 v[20:21], v[18:19], v[20:21], s[36:37]
	s_mov_b32 s36, 0x46cc5e42
	s_mov_b32 s37, 0xbda907db
	v_fma_f64 v[22:23], v[18:19], v[22:23], 1.0
	v_fma_f64 v[24:25], v[18:19], v[24:25], 1.0
	v_fma_f64 v[26:27], v[18:19], v[26:27], s[34:35]
	s_mov_b32 s34, 0xf9a43bb8
	s_mov_b32 s35, 0x3de5e0b2
	v_fma_f64 v[18:19], v[18:19], v[20:21], s[0:1]
	s_mov_b32 s0, 0xb42fdfa7
	s_mov_b32 s1, 0xbe5ae600
	v_div_scale_f64 v[20:21], null, v[22:23], v[22:23], v[24:25]
	v_fma_f64 v[38:39], v[30:31], s[34:35], s[0:1]
	v_fma_f64 v[44:45], v[36:37], s[34:35], s[0:1]
	s_mov_b32 s0, 0x796cde01
	s_mov_b32 s1, 0x3ec71de3
	;; [unrolled: 1-line block ×4, first 2 shown]
	v_div_scale_f64 v[68:69], vcc_lo, v[24:25], v[22:23], v[24:25]
	v_fma_f64 v[46:47], v[30:31], s[36:37], s[34:35]
	v_div_scale_f64 v[28:29], null, v[26:27], v[26:27], v[18:19]
	v_rcp_f64_e32 v[32:33], v[20:21]
	v_fma_f64 v[38:39], v[30:31], v[38:39], s[0:1]
	v_rcp_f64_e32 v[34:35], v[28:29]
	v_fma_f64 v[40:41], -v[20:21], v[32:33], 1.0
	v_fma_f64 v[42:43], -v[28:29], v[34:35], 1.0
	v_fma_f64 v[32:33], v[32:33], v[40:41], v[32:33]
	v_fma_f64 v[40:41], v[36:37], v[44:45], s[0:1]
	v_cmp_gt_f64_e64 s0, 0x10000000, v[1:2]
	v_mul_f64 v[44:45], v[36:37], 0.5
	v_fma_f64 v[34:35], v[34:35], v[42:43], v[34:35]
	v_fma_f64 v[42:43], v[36:37], s[36:37], s[34:35]
	s_mov_b32 s36, 0x19e83e5c
	s_mov_b32 s37, 0xbf2a01a0
	v_fma_f64 v[52:53], -v[20:21], v[32:33], 1.0
	v_fma_f64 v[38:39], v[30:31], v[38:39], s[36:37]
	v_cndmask_b32_e64 v50, 0, 0x100, s0
	s_mov_b32 s34, 0xa17f65f6
	s_mov_b32 s35, 0xbe927e4f
	v_fma_f64 v[40:41], v[36:37], v[40:41], s[36:37]
	v_fma_f64 v[46:47], v[30:31], v[46:47], s[34:35]
	v_ldexp_f64 v[1:2], v[1:2], v50
	v_add_f64 v[50:51], -v[48:49], 1.0
	v_add_f64 v[56:57], -v[44:45], 1.0
	s_mov_b32 s36, 0x19f4ec90
	s_mov_b32 s37, 0x3efa01a0
	v_fma_f64 v[54:55], -v[28:29], v[34:35], 1.0
	v_fma_f64 v[42:43], v[36:37], v[42:43], s[34:35]
	s_mov_b32 s34, 0x11110bb3
	s_mov_b32 s35, 0x3f811111
	v_fma_f64 v[32:33], v[32:33], v[52:53], v[32:33]
	v_fma_f64 v[38:39], v[30:31], v[38:39], s[34:35]
	v_div_scale_f64 v[52:53], s1, v[18:19], v[26:27], v[18:19]
	v_fma_f64 v[40:41], v[36:37], v[40:41], s[34:35]
	v_fma_f64 v[46:47], v[30:31], v[46:47], s[36:37]
	v_rsq_f64_e32 v[58:59], v[1:2]
	v_add_f64 v[64:65], -v[50:51], 1.0
	v_add_f64 v[70:71], -v[56:57], 1.0
	s_mov_b32 s34, 0x16c16967
	s_mov_b32 s35, 0xbf56c16c
	v_fma_f64 v[34:35], v[34:35], v[54:55], v[34:35]
	v_mul_f64 v[54:55], v[9:10], -v[36:37]
	v_fma_f64 v[42:43], v[36:37], v[42:43], s[36:37]
	v_fma_f64 v[38:39], v[62:63], v[38:39], v[60:61]
	v_mul_f64 v[60:61], v[68:69], v[32:33]
	v_fma_f64 v[46:47], v[30:31], v[46:47], s[34:35]
	v_add_f64 v[48:49], v[64:65], -v[48:49]
	v_mul_f64 v[72:73], v[1:2], v[58:59]
	v_mul_f64 v[58:59], v[58:59], 0.5
	v_add_f64 v[44:45], v[70:71], -v[44:45]
	v_mul_f64 v[64:65], v[52:53], v[34:35]
	v_fma_f64 v[40:41], v[54:55], v[40:41], v[66:67]
	v_fma_f64 v[42:43], v[36:37], v[42:43], s[34:35]
	s_mov_b32 s34, 0x55555555
	s_mov_b32 s35, 0x3fa55555
	v_mul_f64 v[66:67], v[30:31], v[30:31]
	v_fma_f64 v[20:21], -v[20:21], v[60:61], v[68:69]
	v_fma_f64 v[46:47], v[30:31], v[46:47], s[34:35]
	v_fma_f64 v[48:49], v[5:6], -v[7:8], v[48:49]
	v_fma_f64 v[7:8], v[30:31], v[38:39], -v[7:8]
	v_fma_f64 v[70:71], -v[58:59], v[72:73], 0.5
	v_mul_f64 v[38:39], v[36:37], v[36:37]
	v_fma_f64 v[28:29], -v[28:29], v[64:65], v[52:53]
	v_fma_f64 v[30:31], v[36:37], v[40:41], -v[11:12]
	v_fma_f64 v[36:37], v[36:37], v[42:43], s[34:35]
	v_fma_f64 v[11:12], v[9:10], -v[11:12], v[44:45]
	s_mov_b32 s35, 0xbfc55555
	v_div_fmas_f64 v[20:21], v[20:21], v[32:33], v[60:61]
	s_mov_b32 vcc_lo, s1
	v_cmp_class_f64_e64 s1, v[3:4], 0x1f8
	v_and_b32_e32 v3, 1, v15
	v_lshlrev_b32_e32 v15, 30, v15
	v_fma_f64 v[42:43], v[66:67], v[46:47], v[48:49]
	v_fma_f64 v[7:8], v[62:63], s[34:35], v[7:8]
	;; [unrolled: 1-line block ×4, first 2 shown]
	v_cmp_eq_u32_e64 s2, 0, v3
	v_div_fmas_f64 v[28:29], v[28:29], v[34:35], v[64:65]
	v_fma_f64 v[30:31], v[54:55], s[34:35], v[30:31]
	v_fma_f64 v[11:12], v[38:39], v[36:37], v[11:12]
	v_add_f64 v[36:37], v[50:51], v[42:43]
	v_add_f64 v[5:6], v[5:6], -v[7:8]
	v_fma_f64 v[34:35], -v[40:41], v[40:41], v[1:2]
	v_div_fixup_f64 v[7:8], v[28:29], v[26:27], v[18:19]
	v_add_f64 v[9:10], v[9:10], -v[30:31]
	v_and_b32_e32 v26, 1, v14
	v_add_f64 v[11:12], v[56:57], v[11:12]
	v_cmp_eq_u32_e32 vcc_lo, 0, v26
	v_cndmask_b32_e32 v5, v36, v5, vcc_lo
	v_fma_f64 v[18:19], v[34:35], v[32:33], v[40:41]
	v_mul_f64 v[7:8], v[16:17], v[7:8]
	v_xor_b32_e32 v3, 0x80000000, v10
	v_and_b32_e32 v10, 0x80000000, v15
	v_cndmask_b32_e64 v11, v9, v11, s2
	v_cndmask_b32_e64 v3, v3, v12, s2
	;; [unrolled: 1-line block ×3, first 2 shown]
	v_xor_b32_e32 v12, v3, v10
	v_cndmask_b32_e64 v3, 0, v5, s1
	v_lshlrev_b32_e32 v5, 30, v14
	v_fma_f64 v[9:10], -v[18:19], v[18:19], v[1:2]
	v_div_fixup_f64 v[14:15], v[20:21], v[22:23], v[24:25]
	v_cndmask_b32_e64 v12, 0x7ff80000, v12, s1
	v_xor_b32_e32 v4, v5, v4
	v_cndmask_b32_e32 v5, v37, v6, vcc_lo
	v_cmp_class_f64_e64 vcc_lo, v[1:2], 0x260
	v_mul_f64 v[7:8], v[7:8], v[11:12]
	v_and_b32_e32 v4, 0x80000000, v4
	v_xor_b32_e32 v4, v5, v4
	v_cndmask_b32_e64 v4, 0x7ff80000, v4, s1
	v_fma_f64 v[5:6], v[9:10], v[32:33], v[18:19]
	v_fma_f64 v[3:4], v[14:15], v[3:4], v[7:8]
	v_cndmask_b32_e64 v7, 0, 0xffffff80, s0
	s_mov_b32 s0, 0x33d43651
	s_mov_b32 s1, 0x3fe98845
	v_ldexp_f64 v[5:6], v[5:6], v7
	v_mul_f64 v[3:4], v[3:4], s[0:1]
	v_cndmask_b32_e32 v2, v6, v2, vcc_lo
	v_cndmask_b32_e32 v1, v5, v1, vcc_lo
	v_div_scale_f64 v[5:6], null, v[1:2], v[1:2], v[3:4]
	v_rcp_f64_e32 v[7:8], v[5:6]
	v_fma_f64 v[9:10], -v[5:6], v[7:8], 1.0
	v_fma_f64 v[7:8], v[7:8], v[9:10], v[7:8]
	v_fma_f64 v[9:10], -v[5:6], v[7:8], 1.0
	v_fma_f64 v[7:8], v[7:8], v[9:10], v[7:8]
	v_div_scale_f64 v[9:10], vcc_lo, v[3:4], v[1:2], v[3:4]
	v_mul_f64 v[11:12], v[9:10], v[7:8]
	v_fma_f64 v[5:6], -v[5:6], v[11:12], v[9:10]
	v_div_fmas_f64 v[5:6], v[5:6], v[7:8], v[11:12]
	v_div_fixup_f64 v[3:4], v[5:6], v[1:2], v[3:4]
.LBB7_194:
	s_or_b32 exec_lo, exec_lo, s3
	v_add_nc_u32_e32 v13, 0x80, v13
	global_store_dwordx2 v0, v[3:4], s[4:5]
	s_or_b32 exec_lo, exec_lo, s30
	s_mov_b32 s30, exec_lo
	v_cmpx_gt_i32_e64 s27, v13
	s_cbranch_execnz .LBB7_164
.LBB7_195:
	s_or_b32 exec_lo, exec_lo, s30
	v_cmp_gt_i32_e32 vcc_lo, s27, v13
	s_and_saveexec_b32 s27, vcc_lo
	s_cbranch_execnz .LBB7_222
.LBB7_196:
	s_or_b32 exec_lo, exec_lo, s27
                                        ; implicit-def: $vgpr12
                                        ; implicit-def: $vgpr13
	s_andn2_saveexec_b32 s0, s25
	s_cbranch_execnz .LBB7_8
.LBB7_197:
	s_endpgm
.LBB7_198:
	v_mov_b32_e32 v0, 0
	v_mov_b32_e32 v2, 0
	;; [unrolled: 1-line block ×3, first 2 shown]
	s_mov_b32 s31, 0
.LBB7_199:
	s_and_b32 s33, s33, 3
	s_cmp_eq_u32 s33, 0
	s_cbranch_scc1 .LBB7_202
; %bb.200:
	s_lshl_b32 s0, s31, 3
	s_mul_i32 s2, s31, 12
	s_add_u32 s0, s16, s0
	s_addc_u32 s1, s17, 0
	s_add_u32 s0, s0, 0xc4
	s_addc_u32 s1, s1, 0
	;; [unrolled: 2-line block ×3, first 2 shown]
	.p2align	6
.LBB7_201:                              ; =>This Inner Loop Header: Depth=1
	s_clause 0x1
	s_load_dwordx2 s[34:35], s[2:3], 0x4
	s_load_dword s31, s[2:3], 0xc
	s_load_dwordx2 s[36:37], s[0:1], 0x0
	s_add_u32 s2, s2, 12
	s_addc_u32 s3, s3, 0
	s_add_u32 s0, s0, 8
	s_addc_u32 s1, s1, 0
	s_add_i32 s33, s33, -1
	s_cmp_lg_u32 s33, 0
	s_waitcnt lgkmcnt(0)
	v_mul_hi_u32 v3, s35, v1
	v_add_nc_u32_e32 v3, v1, v3
	v_lshrrev_b32_e32 v4, s31, v3
	v_mul_lo_u32 v3, v4, s34
	v_sub_nc_u32_e32 v3, v1, v3
	v_mad_u64_u32 v[0:1], null, v3, s36, v[0:1]
	v_mad_u64_u32 v[2:3], null, v3, s37, v[2:3]
	v_mov_b32_e32 v1, v4
	s_cbranch_scc1 .LBB7_201
.LBB7_202:
	s_cbranch_execnz .LBB7_205
.LBB7_203:
	s_waitcnt lgkmcnt(0)
	v_mul_hi_u32 v0, s13, v13
	s_andn2_b32 vcc_lo, exec_lo, s26
	v_add_nc_u32_e32 v0, v13, v0
	v_lshrrev_b32_e32 v1, s14, v0
	v_mul_lo_u32 v0, v1, s12
	v_sub_nc_u32_e32 v2, v13, v0
	v_mul_lo_u32 v0, v2, s8
	v_mul_lo_u32 v2, v2, s9
	s_cbranch_vccnz .LBB7_205
; %bb.204:
	v_mul_hi_u32 v3, s18, v1
	v_add_nc_u32_e32 v3, v1, v3
	v_lshrrev_b32_e32 v3, s19, v3
	v_mul_lo_u32 v3, v3, s15
	v_sub_nc_u32_e32 v3, v1, v3
	v_mad_u64_u32 v[0:1], null, v3, s10, v[0:1]
	v_mad_u64_u32 v[2:3], null, v3, s11, v[2:3]
.LBB7_205:
	s_waitcnt lgkmcnt(0)
	global_load_dwordx2 v[1:2], v2, s[6:7]
                                        ; implicit-def: $vgpr3_vgpr4
	s_mov_b32 s0, exec_lo
	s_waitcnt vmcnt(0)
	v_cmpx_ge_f64_e32 0x40140000, v[1:2]
	s_xor_b32 s2, exec_lo, s0
	s_cbranch_execz .LBB7_211
; %bb.206:
	v_mov_b32_e32 v3, 0
	v_mov_b32_e32 v4, 0xfff00000
	s_mov_b32 s3, exec_lo
	v_cmpx_neq_f64_e32 0, v[1:2]
	s_cbranch_execz .LBB7_210
; %bb.207:
	v_mov_b32_e32 v3, 0
	v_mov_b32_e32 v4, 0x7ff80000
	s_mov_b32 s31, exec_lo
	v_cmpx_nge_f64_e32 0, v[1:2]
	s_cbranch_execz .LBB7_209
; %bb.208:
	v_frexp_mant_f64_e32 v[3:4], v[1:2]
	s_mov_b32 s1, 0x3fe55555
	s_mov_b32 s0, 0x55555555
	;; [unrolled: 1-line block ×8, first 2 shown]
	v_frexp_exp_i32_f64_e32 v26, v[1:2]
	s_mov_b32 s40, 0xfefa39ef
	s_mov_b32 s41, 0x3fe62e42
	v_cmp_gt_f64_e32 vcc_lo, s[0:1], v[3:4]
	s_mov_b32 s0, 0x55555780
	v_cndmask_b32_e64 v5, 0, 1, vcc_lo
	v_ldexp_f64 v[3:4], v[3:4], v5
	v_add_f64 v[5:6], v[3:4], 1.0
	v_add_f64 v[11:12], v[3:4], -1.0
	v_rcp_f64_e32 v[7:8], v[5:6]
	v_add_f64 v[14:15], v[5:6], -1.0
	v_add_f64 v[3:4], v[3:4], -v[14:15]
	v_fma_f64 v[9:10], -v[5:6], v[7:8], 1.0
	v_fma_f64 v[7:8], v[9:10], v[7:8], v[7:8]
	v_fma_f64 v[9:10], -v[5:6], v[7:8], 1.0
	v_fma_f64 v[7:8], v[9:10], v[7:8], v[7:8]
	v_mul_f64 v[9:10], v[11:12], v[7:8]
	v_mul_f64 v[16:17], v[5:6], v[9:10]
	v_fma_f64 v[5:6], v[9:10], v[5:6], -v[16:17]
	v_fma_f64 v[3:4], v[9:10], v[3:4], v[5:6]
	v_add_f64 v[5:6], v[16:17], v[3:4]
	v_add_f64 v[14:15], v[11:12], -v[5:6]
	v_add_f64 v[16:17], v[5:6], -v[16:17]
	;; [unrolled: 1-line block ×5, first 2 shown]
	v_add_f64 v[3:4], v[3:4], v[5:6]
	v_add_f64 v[3:4], v[14:15], v[3:4]
	v_mul_f64 v[14:15], v[1:2], v[1:2]
	v_mul_f64 v[3:4], v[7:8], v[3:4]
	v_add_f64 v[5:6], v[9:10], v[3:4]
	v_mul_f64 v[7:8], v[5:6], v[5:6]
	v_ldexp_f64 v[24:25], v[5:6], 1
	v_fma_f64 v[11:12], v[7:8], s[36:37], s[34:35]
	s_mov_b32 s34, 0xd7f4df2e
	s_mov_b32 s35, 0x3fc7474d
	;; [unrolled: 1-line block ×4, first 2 shown]
	v_mul_f64 v[22:23], v[5:6], v[7:8]
	v_fma_f64 v[18:19], v[14:15], 0, s[36:37]
	s_mov_b32 s36, 0xdd701b2
	s_mov_b32 s37, 0x410f5eda
	v_add_f64 v[5:6], v[5:6], -v[9:10]
	v_fma_f64 v[11:12], v[7:8], v[11:12], s[34:35]
	s_mov_b32 s34, 0xa93f7ac2
	s_mov_b32 s35, 0x40829269
	v_fma_f64 v[16:17], v[14:15], 0, s[34:35]
	s_mov_b32 s34, 0x16291751
	s_mov_b32 s35, 0x3fcc71c0
	v_fma_f64 v[18:19], v[14:15], v[18:19], s[36:37]
	s_mov_b32 s36, 0xa9c8acee
	s_mov_b32 s37, 0x419184ef
	v_add_f64 v[3:4], v[3:4], -v[5:6]
	v_fma_f64 v[11:12], v[7:8], v[11:12], s[34:35]
	s_mov_b32 s34, 0xbe58ef7f
	s_mov_b32 s35, 0x410cc160
	v_fma_f64 v[16:17], v[14:15], v[16:17], s[34:35]
	s_mov_b32 s34, 0x9b27acf1
	s_mov_b32 s35, 0x3fd24924
	;; [unrolled: 3-line block ×3, first 2 shown]
	v_ldexp_f64 v[3:4], v[3:4], 1
	v_fma_f64 v[11:12], v[7:8], v[11:12], s[34:35]
	s_mov_b32 s34, 0x62f9b6c5
	s_mov_b32 s35, 0x41d2d2be
	v_fma_f64 v[20:21], v[14:15], 0, s[34:35]
	v_fma_f64 v[16:17], v[14:15], v[16:17], s[36:37]
	s_mov_b32 s34, 0x998ef7b6
	s_mov_b32 s35, 0x3fd99999
	;; [unrolled: 1-line block ×4, first 2 shown]
	v_fma_f64 v[18:19], v[14:15], v[18:19], s[38:39]
	s_mov_b32 s38, 0x8076ffa8
	s_mov_b32 s39, 0x429146fb
	v_fma_f64 v[11:12], v[7:8], v[11:12], s[34:35]
	s_mov_b32 s34, 0x58836521
	s_mov_b32 s35, 0xc262d72d
	v_fma_f64 v[20:21], v[14:15], v[20:21], s[34:35]
	v_fma_f64 v[16:17], v[14:15], v[16:17], s[36:37]
	s_mov_b32 s34, 0xfda99316
	s_mov_b32 s36, 0x4cda4fc5
	;; [unrolled: 1-line block ×4, first 2 shown]
	v_fma_f64 v[18:19], v[14:15], v[18:19], s[38:39]
	s_mov_b32 s38, 0x3eccf45f
	s_mov_b32 s39, 0x43064b0a
	v_fma_f64 v[7:8], v[7:8], v[11:12], s[0:1]
	s_mov_b32 s0, 0xb0910fef
	s_mov_b32 s1, 0x42da0954
	v_fma_f64 v[11:12], v[14:15], v[20:21], s[0:1]
	v_fma_f64 v[16:17], v[14:15], v[16:17], s[34:35]
	;; [unrolled: 1-line block ×3, first 2 shown]
	s_mov_b32 s0, 0x37a1b083
	s_mov_b32 s34, 0xd71d1e4e
	;; [unrolled: 1-line block ×6, first 2 shown]
	v_fma_f64 v[18:19], v[14:15], v[18:19], s[38:39]
	s_mov_b32 s38, 0xf4653f81
	s_mov_b32 s39, 0x4373e0bf
	v_mul_f64 v[7:8], v[22:23], v[7:8]
	v_subrev_co_ci_u32_e64 v22, null, 0, v26, vcc_lo
	v_fma_f64 v[11:12], v[14:15], v[11:12], s[0:1]
	v_fma_f64 v[16:17], v[14:15], v[16:17], s[34:35]
	v_fma_f64 v[20:21], v[14:15], v[20:21], s[36:37]
	v_cvt_f64_i32_e32 v[22:23], v22
	s_mov_b32 s0, 0xb7366b1
	s_mov_b32 s34, 0xc547a488
	;; [unrolled: 1-line block ×6, first 2 shown]
	v_fma_f64 v[18:19], v[14:15], v[18:19], s[38:39]
	s_mov_b32 s38, 0xa697c482
	s_mov_b32 s39, 0x432a2b42
	v_add_f64 v[9:10], v[24:25], v[7:8]
	v_fma_f64 v[11:12], v[14:15], v[11:12], s[0:1]
	v_fma_f64 v[16:17], v[14:15], v[16:17], s[34:35]
	;; [unrolled: 1-line block ×3, first 2 shown]
	v_mul_f64 v[26:27], v[22:23], s[40:41]
	s_mov_b32 s0, 0x90f6747f
	s_mov_b32 s34, 0x5dde2b17
	s_mov_b32 s36, 0x76702939
	s_mov_b32 s1, 0x43cb90f1
	s_mov_b32 s35, 0xc3a59e41
	s_mov_b32 s37, 0x43d27795
	v_add_f64 v[5:6], v[9:10], -v[24:25]
	v_fma_f64 v[11:12], v[14:15], v[11:12], s[34:35]
	v_fma_f64 v[16:17], v[14:15], v[16:17], s[0:1]
	;; [unrolled: 1-line block ×4, first 2 shown]
	v_fma_f64 v[18:19], v[22:23], s[40:41], -v[26:27]
	s_mov_b32 s0, 0x3b39803f
	s_mov_b32 s1, 0x3c7abc9e
	v_add_f64 v[5:6], v[7:8], -v[5:6]
	v_div_scale_f64 v[7:8], null, v[16:17], v[16:17], v[11:12]
	v_div_scale_f64 v[24:25], null, v[14:15], v[14:15], v[20:21]
	v_fma_f64 v[18:19], v[22:23], s[0:1], v[18:19]
	v_add_f64 v[3:4], v[3:4], v[5:6]
	v_rcp_f64_e32 v[5:6], v[7:8]
	v_rcp_f64_e32 v[22:23], v[24:25]
	v_add_f64 v[28:29], v[26:27], v[18:19]
	v_add_f64 v[30:31], v[9:10], v[3:4]
	v_fma_f64 v[32:33], -v[7:8], v[5:6], 1.0
	v_fma_f64 v[34:35], -v[24:25], v[22:23], 1.0
	v_add_f64 v[26:27], v[28:29], -v[26:27]
	v_add_f64 v[36:37], v[28:29], v[30:31]
	v_add_f64 v[9:10], v[30:31], -v[9:10]
	v_fma_f64 v[5:6], v[5:6], v[32:33], v[5:6]
	v_fma_f64 v[22:23], v[22:23], v[34:35], v[22:23]
	v_div_scale_f64 v[34:35], null, v[1:2], v[1:2], -1.0
	v_add_f64 v[18:19], v[18:19], -v[26:27]
	v_div_scale_f64 v[26:27], vcc_lo, v[11:12], v[16:17], v[11:12]
	v_add_f64 v[32:33], v[36:37], -v[28:29]
	v_add_f64 v[3:4], v[3:4], -v[9:10]
	v_fma_f64 v[38:39], -v[7:8], v[5:6], 1.0
	v_fma_f64 v[40:41], -v[24:25], v[22:23], 1.0
	v_rcp_f64_e32 v[44:45], v[34:35]
	v_add_f64 v[42:43], v[36:37], -v[32:33]
	v_add_f64 v[9:10], v[30:31], -v[32:33]
	v_fma_f64 v[5:6], v[5:6], v[38:39], v[5:6]
	v_div_scale_f64 v[38:39], s0, v[20:21], v[14:15], v[20:21]
	v_fma_f64 v[22:23], v[22:23], v[40:41], v[22:23]
	v_fma_f64 v[30:31], -v[34:35], v[44:45], 1.0
	v_add_f64 v[28:29], v[28:29], -v[42:43]
	v_add_f64 v[42:43], v[18:19], v[3:4]
	v_mul_f64 v[32:33], v[26:27], v[5:6]
	v_mul_f64 v[40:41], v[38:39], v[22:23]
	v_add_f64 v[9:10], v[9:10], v[28:29]
	v_fma_f64 v[28:29], v[44:45], v[30:31], v[44:45]
	v_fma_f64 v[7:8], -v[7:8], v[32:33], v[26:27]
	v_add_f64 v[26:27], v[42:43], -v[18:19]
	v_fma_f64 v[24:25], -v[24:25], v[40:41], v[38:39]
	v_add_f64 v[9:10], v[42:43], v[9:10]
	v_fma_f64 v[30:31], -v[34:35], v[28:29], 1.0
	v_div_fmas_f64 v[5:6], v[7:8], v[5:6], v[32:33]
	s_mov_b32 vcc_lo, s0
	v_add_f64 v[3:4], v[3:4], -v[26:27]
	v_div_fmas_f64 v[7:8], v[24:25], v[22:23], v[40:41]
	v_add_f64 v[22:23], v[42:43], -v[26:27]
	v_div_scale_f64 v[32:33], vcc_lo, -1.0, v[1:2], -1.0
	s_mov_b32 s0, 0x4189822c
	s_mov_b32 s1, 0xc02d5d2b
	v_add_f64 v[24:25], v[36:37], v[9:10]
	v_fma_f64 v[28:29], v[28:29], v[30:31], v[28:29]
	v_div_fixup_f64 v[5:6], v[5:6], v[16:17], v[11:12]
	v_div_fixup_f64 v[7:8], v[7:8], v[14:15], v[20:21]
	v_add_f64 v[14:15], v[18:19], -v[22:23]
	v_fma_f64 v[22:23], v[1:2], v[1:2], s[0:1]
	s_mov_b32 s0, 0x6072a432
	s_mov_b32 s1, 0xc0489bf6
	v_add_f64 v[18:19], v[24:25], -v[36:37]
	v_mul_f64 v[20:21], v[32:33], v[28:29]
	v_mul_f64 v[7:8], v[1:2], v[7:8]
	v_add_f64 v[3:4], v[3:4], v[14:15]
	v_add_f64 v[9:10], v[9:10], -v[18:19]
	v_fma_f64 v[14:15], -v[34:35], v[20:21], v[32:33]
	v_fma_f64 v[18:19], v[1:2], v[1:2], s[0:1]
	s_mov_b32 s0, 0x6dc9c883
	s_mov_b32 s1, 0x3fe45f30
	v_mul_f64 v[7:8], v[22:23], v[7:8]
	v_add_f64 v[3:4], v[3:4], v[9:10]
	v_div_fmas_f64 v[9:10], v[14:15], v[28:29], v[20:21]
	v_mul_f64 v[7:8], v[18:19], v[7:8]
	v_add_f64 v[3:4], v[24:25], v[3:4]
	v_div_fixup_f64 v[9:10], v[9:10], v[1:2], -1.0
	v_fma_f64 v[3:4], v[7:8], v[3:4], v[9:10]
	v_mul_f64 v[3:4], v[3:4], s[0:1]
	v_fma_f64 v[3:4], v[1:2], v[5:6], v[3:4]
.LBB7_209:
	s_or_b32 exec_lo, exec_lo, s31
.LBB7_210:
	s_or_b32 exec_lo, exec_lo, s3
                                        ; implicit-def: $vgpr1_vgpr2
.LBB7_211:
	s_andn2_saveexec_b32 s3, s2
	s_cbranch_execz .LBB7_221
; %bb.212:
	s_mov_b32 s0, 0x7f3321d2
	s_mov_b32 s1, 0xc002d97c
                                        ; implicit-def: $vgpr14
                                        ; implicit-def: $vgpr5_vgpr6
                                        ; implicit-def: $vgpr7_vgpr8
	v_add_f64 v[3:4], v[1:2], s[0:1]
	v_cmp_ngt_f64_e64 s0, 0x41d00000, |v[3:4]|
	s_and_saveexec_b32 s1, s0
	s_xor_b32 s1, exec_lo, s1
	s_cbranch_execz .LBB7_214
; %bb.213:
	v_ldexp_f64 v[5:6], |v[3:4]|, 0xffffff80
	v_cmp_le_f64_e64 vcc_lo, 0x7b000000, |v[3:4]|
	v_trig_preop_f64 v[7:8], |v[3:4]|, 0
	v_and_b32_e32 v9, 0x7fffffff, v4
	v_trig_preop_f64 v[20:21], |v[3:4]|, 2
	v_mov_b32_e32 v28, 0
	s_mov_b32 s34, 0x54442d18
	s_mov_b32 s35, 0x3ff921fb
	;; [unrolled: 1-line block ×4, first 2 shown]
	v_cndmask_b32_e32 v6, v9, v6, vcc_lo
	v_cndmask_b32_e32 v5, v3, v5, vcc_lo
	v_trig_preop_f64 v[9:10], |v[3:4]|, 1
	v_mul_f64 v[11:12], v[7:8], v[5:6]
	v_mul_f64 v[26:27], v[20:21], v[5:6]
	;; [unrolled: 1-line block ×3, first 2 shown]
	v_fma_f64 v[7:8], v[7:8], v[5:6], -v[11:12]
	v_fma_f64 v[9:10], v[9:10], v[5:6], -v[14:15]
	;; [unrolled: 1-line block ×3, first 2 shown]
	v_add_f64 v[16:17], v[14:15], v[7:8]
	v_add_f64 v[18:19], v[16:17], -v[14:15]
	v_add_f64 v[24:25], v[11:12], v[16:17]
	v_add_f64 v[22:23], v[16:17], -v[18:19]
	v_add_f64 v[7:8], v[7:8], -v[18:19]
	v_ldexp_f64 v[18:19], v[24:25], -2
	v_add_f64 v[11:12], v[24:25], -v[11:12]
	v_add_f64 v[14:15], v[14:15], -v[22:23]
	v_add_f64 v[22:23], v[26:27], v[9:10]
	v_cmp_neq_f64_e64 vcc_lo, 0x7ff00000, |v[18:19]|
	v_add_f64 v[11:12], v[16:17], -v[11:12]
	v_add_f64 v[7:8], v[7:8], v[14:15]
	v_fract_f64_e32 v[14:15], v[18:19]
	v_add_f64 v[16:17], v[22:23], v[7:8]
	v_ldexp_f64 v[14:15], v[14:15], 2
	v_add_f64 v[18:19], v[11:12], v[16:17]
	v_cndmask_b32_e32 v15, 0, v15, vcc_lo
	v_cndmask_b32_e32 v14, 0, v14, vcc_lo
	v_add_f64 v[24:25], v[18:19], v[14:15]
	v_add_f64 v[11:12], v[18:19], -v[11:12]
	v_cmp_gt_f64_e32 vcc_lo, 0, v[24:25]
	v_add_f64 v[24:25], v[22:23], -v[26:27]
	v_add_f64 v[11:12], v[16:17], -v[11:12]
	v_cndmask_b32_e64 v29, 0, 0x40100000, vcc_lo
	v_add_f64 v[33:34], v[22:23], -v[24:25]
	v_add_f64 v[9:10], v[9:10], -v[24:25]
	v_add_f64 v[14:15], v[14:15], v[28:29]
	v_add_f64 v[29:30], v[16:17], -v[22:23]
	v_add_f64 v[24:25], v[26:27], -v[33:34]
	v_add_f64 v[31:32], v[18:19], v[14:15]
	v_add_f64 v[35:36], v[16:17], -v[29:30]
	v_add_f64 v[7:8], v[7:8], -v[29:30]
	v_add_f64 v[9:10], v[9:10], v[24:25]
	v_cvt_i32_f64_e32 v31, v[31:32]
	v_add_f64 v[22:23], v[22:23], -v[35:36]
	v_cvt_f64_i32_e32 v[29:30], v31
	v_add_f64 v[7:8], v[7:8], v[22:23]
	v_add_f64 v[14:15], v[14:15], -v[29:30]
	v_add_f64 v[7:8], v[9:10], v[7:8]
	v_add_f64 v[9:10], v[18:19], v[14:15]
	;; [unrolled: 1-line block ×3, first 2 shown]
	v_add_f64 v[7:8], v[9:10], -v[14:15]
	v_cmp_le_f64_e32 vcc_lo, 0.5, v[9:10]
	v_add_f64 v[5:6], v[11:12], v[5:6]
	v_add_f64 v[7:8], v[18:19], -v[7:8]
	v_cndmask_b32_e64 v29, 0, 0x3ff00000, vcc_lo
	v_add_co_ci_u32_e64 v14, null, 0, v31, vcc_lo
	v_add_f64 v[5:6], v[5:6], v[7:8]
	v_add_f64 v[7:8], v[9:10], -v[28:29]
	v_add_f64 v[9:10], v[7:8], v[5:6]
	v_mul_f64 v[11:12], v[9:10], s[34:35]
	v_add_f64 v[7:8], v[9:10], -v[7:8]
	v_fma_f64 v[15:16], v[9:10], s[34:35], -v[11:12]
	v_add_f64 v[5:6], v[5:6], -v[7:8]
	v_fma_f64 v[7:8], v[9:10], s[36:37], v[15:16]
	v_fma_f64 v[7:8], v[5:6], s[34:35], v[7:8]
	v_add_f64 v[5:6], v[11:12], v[7:8]
	v_add_f64 v[9:10], v[5:6], -v[11:12]
	v_add_f64 v[7:8], v[7:8], -v[9:10]
	s_andn2_saveexec_b32 s1, s1
	s_cbranch_execz .LBB7_216
	s_branch .LBB7_215
.LBB7_214:
	s_andn2_saveexec_b32 s1, s1
	s_cbranch_execz .LBB7_216
.LBB7_215:
	s_mov_b32 s34, 0x6dc9c883
	s_mov_b32 s35, 0x3fe45f30
	;; [unrolled: 1-line block ×3, first 2 shown]
	v_mul_f64 v[5:6], |v[3:4]|, s[34:35]
	s_mov_b32 s34, 0x54442d18
	s_mov_b32 s35, 0xbff921fb
	;; [unrolled: 1-line block ×3, first 2 shown]
	v_rndne_f64_e32 v[9:10], v[5:6]
	v_fma_f64 v[5:6], v[9:10], s[34:35], |v[3:4]|
	v_mul_f64 v[7:8], v[9:10], s[36:37]
	s_mov_b32 s34, 0x252049c0
	s_mov_b32 s35, 0xb97b839a
	v_fma_f64 v[14:15], v[9:10], s[36:37], v[5:6]
	v_add_f64 v[11:12], v[5:6], v[7:8]
	s_mov_b32 s37, 0x3c91a626
	v_add_f64 v[5:6], v[5:6], -v[11:12]
	v_add_f64 v[11:12], v[11:12], -v[14:15]
	v_add_f64 v[5:6], v[5:6], v[7:8]
	v_fma_f64 v[7:8], v[9:10], s[36:37], v[7:8]
	v_add_f64 v[5:6], v[11:12], v[5:6]
	v_add_f64 v[5:6], v[5:6], -v[7:8]
	v_fma_f64 v[7:8], v[9:10], s[34:35], v[5:6]
	v_add_f64 v[5:6], v[14:15], v[7:8]
	v_add_f64 v[11:12], v[5:6], -v[14:15]
	v_cvt_i32_f64_e32 v14, v[9:10]
	v_add_f64 v[7:8], v[7:8], -v[11:12]
.LBB7_216:
	s_or_b32 exec_lo, exec_lo, s1
                                        ; implicit-def: $vgpr15
                                        ; implicit-def: $vgpr9_vgpr10
                                        ; implicit-def: $vgpr11_vgpr12
	s_and_saveexec_b32 s1, s0
	s_xor_b32 s0, exec_lo, s1
	s_cbranch_execz .LBB7_218
; %bb.217:
	v_ldexp_f64 v[9:10], |v[3:4]|, 0xffffff80
	v_cmp_le_f64_e64 vcc_lo, 0x7b000000, |v[3:4]|
	v_trig_preop_f64 v[11:12], |v[3:4]|, 0
	v_and_b32_e32 v15, 0x7fffffff, v4
	v_trig_preop_f64 v[25:26], |v[3:4]|, 2
	v_mov_b32_e32 v33, 0
	s_mov_b32 s34, 0x54442d18
	s_mov_b32 s35, 0x3ff921fb
	;; [unrolled: 1-line block ×4, first 2 shown]
	v_cndmask_b32_e32 v10, v15, v10, vcc_lo
	v_cndmask_b32_e32 v9, v3, v9, vcc_lo
	v_trig_preop_f64 v[15:16], |v[3:4]|, 1
	v_mul_f64 v[17:18], v[11:12], v[9:10]
	v_mul_f64 v[31:32], v[25:26], v[9:10]
	;; [unrolled: 1-line block ×3, first 2 shown]
	v_fma_f64 v[11:12], v[11:12], v[9:10], -v[17:18]
	v_fma_f64 v[15:16], v[15:16], v[9:10], -v[19:20]
	;; [unrolled: 1-line block ×3, first 2 shown]
	v_add_f64 v[21:22], v[19:20], v[11:12]
	v_add_f64 v[23:24], v[21:22], -v[19:20]
	v_add_f64 v[29:30], v[17:18], v[21:22]
	v_add_f64 v[27:28], v[21:22], -v[23:24]
	v_add_f64 v[11:12], v[11:12], -v[23:24]
	v_ldexp_f64 v[23:24], v[29:30], -2
	v_add_f64 v[17:18], v[29:30], -v[17:18]
	v_add_f64 v[19:20], v[19:20], -v[27:28]
	v_add_f64 v[27:28], v[31:32], v[15:16]
	v_cmp_neq_f64_e64 vcc_lo, 0x7ff00000, |v[23:24]|
	v_add_f64 v[17:18], v[21:22], -v[17:18]
	v_add_f64 v[11:12], v[11:12], v[19:20]
	v_fract_f64_e32 v[19:20], v[23:24]
	v_add_f64 v[21:22], v[27:28], v[11:12]
	v_ldexp_f64 v[19:20], v[19:20], 2
	v_add_f64 v[23:24], v[17:18], v[21:22]
	v_cndmask_b32_e32 v20, 0, v20, vcc_lo
	v_cndmask_b32_e32 v19, 0, v19, vcc_lo
	v_add_f64 v[29:30], v[23:24], v[19:20]
	v_add_f64 v[17:18], v[23:24], -v[17:18]
	v_cmp_gt_f64_e32 vcc_lo, 0, v[29:30]
	v_add_f64 v[29:30], v[27:28], -v[31:32]
	v_cndmask_b32_e64 v34, 0, 0x40100000, vcc_lo
	v_add_f64 v[38:39], v[27:28], -v[29:30]
	v_add_f64 v[15:16], v[15:16], -v[29:30]
	v_add_f64 v[19:20], v[19:20], v[33:34]
	v_add_f64 v[34:35], v[21:22], -v[27:28]
	v_add_f64 v[29:30], v[31:32], -v[38:39]
	v_add_f64 v[36:37], v[23:24], v[19:20]
	;; [unrolled: 3-line block ×3, first 2 shown]
	v_cvt_i32_f64_e32 v36, v[36:37]
	v_add_f64 v[27:28], v[27:28], -v[40:41]
	v_cvt_f64_i32_e32 v[34:35], v36
	v_add_f64 v[11:12], v[11:12], v[27:28]
	v_add_f64 v[19:20], v[19:20], -v[34:35]
	v_add_f64 v[11:12], v[15:16], v[11:12]
	v_add_f64 v[15:16], v[21:22], -v[17:18]
	v_add_f64 v[25:26], v[23:24], v[19:20]
	v_add_f64 v[9:10], v[9:10], v[11:12]
	v_add_f64 v[11:12], v[25:26], -v[19:20]
	v_cmp_le_f64_e32 vcc_lo, 0.5, v[25:26]
	v_add_f64 v[9:10], v[15:16], v[9:10]
	v_add_f64 v[11:12], v[23:24], -v[11:12]
	v_cndmask_b32_e64 v34, 0, 0x3ff00000, vcc_lo
	v_add_co_ci_u32_e64 v15, null, 0, v36, vcc_lo
	v_add_f64 v[9:10], v[9:10], v[11:12]
	v_add_f64 v[11:12], v[25:26], -v[33:34]
	v_add_f64 v[16:17], v[11:12], v[9:10]
	v_mul_f64 v[18:19], v[16:17], s[34:35]
	v_add_f64 v[11:12], v[16:17], -v[11:12]
	v_fma_f64 v[20:21], v[16:17], s[34:35], -v[18:19]
	v_add_f64 v[9:10], v[9:10], -v[11:12]
	v_fma_f64 v[11:12], v[16:17], s[36:37], v[20:21]
	v_fma_f64 v[11:12], v[9:10], s[34:35], v[11:12]
	v_add_f64 v[9:10], v[18:19], v[11:12]
	v_add_f64 v[16:17], v[9:10], -v[18:19]
	v_add_f64 v[11:12], v[11:12], -v[16:17]
	s_andn2_saveexec_b32 s0, s0
	s_cbranch_execnz .LBB7_219
	s_branch .LBB7_220
.LBB7_218:
	s_andn2_saveexec_b32 s0, s0
	s_cbranch_execz .LBB7_220
.LBB7_219:
	s_mov_b32 s34, 0x6dc9c883
	s_mov_b32 s35, 0x3fe45f30
	;; [unrolled: 1-line block ×3, first 2 shown]
	v_mul_f64 v[9:10], |v[3:4]|, s[34:35]
	s_mov_b32 s34, 0x54442d18
	s_mov_b32 s35, 0xbff921fb
	;; [unrolled: 1-line block ×3, first 2 shown]
	v_rndne_f64_e32 v[15:16], v[9:10]
	v_fma_f64 v[9:10], v[15:16], s[34:35], |v[3:4]|
	v_mul_f64 v[11:12], v[15:16], s[36:37]
	s_mov_b32 s34, 0x252049c0
	s_mov_b32 s35, 0xb97b839a
	v_fma_f64 v[19:20], v[15:16], s[36:37], v[9:10]
	v_add_f64 v[17:18], v[9:10], v[11:12]
	s_mov_b32 s37, 0x3c91a626
	v_add_f64 v[9:10], v[9:10], -v[17:18]
	v_add_f64 v[17:18], v[17:18], -v[19:20]
	v_add_f64 v[9:10], v[9:10], v[11:12]
	v_fma_f64 v[11:12], v[15:16], s[36:37], v[11:12]
	v_add_f64 v[9:10], v[17:18], v[9:10]
	v_add_f64 v[9:10], v[9:10], -v[11:12]
	v_fma_f64 v[11:12], v[15:16], s[34:35], v[9:10]
	v_cvt_i32_f64_e32 v15, v[15:16]
	v_add_f64 v[9:10], v[19:20], v[11:12]
	v_add_f64 v[17:18], v[9:10], -v[19:20]
	v_add_f64 v[11:12], v[11:12], -v[17:18]
.LBB7_220:
	s_or_b32 exec_lo, exec_lo, s0
	v_div_scale_f64 v[16:17], null, v[1:2], v[1:2], 0x40140000
	v_div_scale_f64 v[22:23], vcc_lo, 0x40140000, v[1:2], 0x40140000
	s_mov_b32 s0, 0x6b70ba40
	s_mov_b32 s1, 0x3faa27fa
	;; [unrolled: 1-line block ×8, first 2 shown]
	v_mul_f64 v[30:31], v[5:6], v[5:6]
	v_mul_f64 v[36:37], v[9:10], v[9:10]
	v_mul_f64 v[60:61], v[7:8], 0.5
	v_mul_f64 v[66:67], v[11:12], 0.5
	v_rcp_f64_e32 v[18:19], v[16:17]
	v_mul_f64 v[48:49], v[30:31], 0.5
	v_mul_f64 v[62:63], v[5:6], -v[30:31]
	v_fma_f64 v[20:21], -v[16:17], v[18:19], 1.0
	v_fma_f64 v[18:19], v[18:19], v[20:21], v[18:19]
	v_fma_f64 v[20:21], -v[16:17], v[18:19], 1.0
	v_fma_f64 v[18:19], v[18:19], v[20:21], v[18:19]
	v_mul_f64 v[20:21], v[22:23], v[18:19]
	v_fma_f64 v[16:17], -v[16:17], v[20:21], v[22:23]
	v_div_fmas_f64 v[16:17], v[16:17], v[18:19], v[20:21]
	v_div_fixup_f64 v[16:17], v[16:17], v[1:2], 0x40140000
	v_mul_f64 v[18:19], v[16:17], v[16:17]
	v_fma_f64 v[20:21], v[18:19], 0, s[0:1]
	s_mov_b32 s0, 0x4c6c651b
	s_mov_b32 s1, 0x3f48f92c
	v_fma_f64 v[22:23], v[18:19], 0, s[34:35]
	v_fma_f64 v[24:25], v[18:19], 0, s[0:1]
	v_fma_f64 v[26:27], v[18:19], 0, s[38:39]
	s_mov_b32 s0, 0xa3fec4b6
	s_mov_b32 s34, 0x5948aa83
	s_mov_b32 s1, 0x3fb2b948
	s_mov_b32 s35, 0x3fb19fdd
	s_mov_b32 s38, 0xa20e5f6f
	s_mov_b32 s39, 0x409081cb
	v_fma_f64 v[20:21], v[18:19], v[20:21], s[36:37]
	s_mov_b32 s36, 0x9acf1c67
	s_mov_b32 s37, 0x4052f4b9
	v_fma_f64 v[22:23], v[18:19], v[22:23], s[34:35]
	v_fma_f64 v[24:25], v[18:19], v[24:25], s[0:1]
	v_fma_f64 v[26:27], v[18:19], v[26:27], s[38:39]
	s_mov_b32 s0, 0xc21596d6
	s_mov_b32 s34, 0xb850eed6
	s_mov_b32 s1, 0x3ff208fe
	s_mov_b32 s35, 0x3ff1aea9
	s_mov_b32 s38, 0x1bfdfe81
	s_mov_b32 s39, 0x40b37a69
	;; [unrolled: 12-line block ×5, first 2 shown]
	v_fma_f64 v[20:21], v[18:19], v[20:21], s[36:37]
	s_mov_b32 s36, 0x4c54bb0b
	s_mov_b32 s37, 0x406a760a
	v_fma_f64 v[22:23], v[18:19], v[22:23], s[34:35]
	v_fma_f64 v[24:25], v[18:19], v[24:25], s[0:1]
	;; [unrolled: 1-line block ×3, first 2 shown]
	s_mov_b32 s0, 0x4d159eb5
	s_mov_b32 s34, 0x6ae75997
	;; [unrolled: 1-line block ×4, first 2 shown]
	v_fma_f64 v[20:21], v[18:19], v[20:21], s[36:37]
	s_mov_b32 s36, 0x46cc5e42
	s_mov_b32 s37, 0xbda907db
	v_fma_f64 v[22:23], v[18:19], v[22:23], 1.0
	v_fma_f64 v[24:25], v[18:19], v[24:25], 1.0
	v_fma_f64 v[26:27], v[18:19], v[26:27], s[34:35]
	s_mov_b32 s34, 0xf9a43bb8
	s_mov_b32 s35, 0x3de5e0b2
	v_fma_f64 v[18:19], v[18:19], v[20:21], s[0:1]
	s_mov_b32 s0, 0xb42fdfa7
	s_mov_b32 s1, 0xbe5ae600
	v_div_scale_f64 v[20:21], null, v[22:23], v[22:23], v[24:25]
	v_fma_f64 v[38:39], v[30:31], s[34:35], s[0:1]
	v_fma_f64 v[44:45], v[36:37], s[34:35], s[0:1]
	s_mov_b32 s0, 0x796cde01
	s_mov_b32 s1, 0x3ec71de3
	;; [unrolled: 1-line block ×4, first 2 shown]
	v_div_scale_f64 v[68:69], vcc_lo, v[24:25], v[22:23], v[24:25]
	v_fma_f64 v[46:47], v[30:31], s[36:37], s[34:35]
	v_div_scale_f64 v[28:29], null, v[26:27], v[26:27], v[18:19]
	v_rcp_f64_e32 v[32:33], v[20:21]
	v_fma_f64 v[38:39], v[30:31], v[38:39], s[0:1]
	v_rcp_f64_e32 v[34:35], v[28:29]
	v_fma_f64 v[40:41], -v[20:21], v[32:33], 1.0
	v_fma_f64 v[42:43], -v[28:29], v[34:35], 1.0
	v_fma_f64 v[32:33], v[32:33], v[40:41], v[32:33]
	v_fma_f64 v[40:41], v[36:37], v[44:45], s[0:1]
	v_cmp_gt_f64_e64 s0, 0x10000000, v[1:2]
	v_mul_f64 v[44:45], v[36:37], 0.5
	v_fma_f64 v[34:35], v[34:35], v[42:43], v[34:35]
	v_fma_f64 v[42:43], v[36:37], s[36:37], s[34:35]
	s_mov_b32 s36, 0x19e83e5c
	s_mov_b32 s37, 0xbf2a01a0
	v_fma_f64 v[52:53], -v[20:21], v[32:33], 1.0
	v_fma_f64 v[38:39], v[30:31], v[38:39], s[36:37]
	v_cndmask_b32_e64 v50, 0, 0x100, s0
	s_mov_b32 s34, 0xa17f65f6
	s_mov_b32 s35, 0xbe927e4f
	v_fma_f64 v[40:41], v[36:37], v[40:41], s[36:37]
	v_fma_f64 v[46:47], v[30:31], v[46:47], s[34:35]
	v_ldexp_f64 v[1:2], v[1:2], v50
	v_add_f64 v[50:51], -v[48:49], 1.0
	v_add_f64 v[56:57], -v[44:45], 1.0
	s_mov_b32 s36, 0x19f4ec90
	s_mov_b32 s37, 0x3efa01a0
	v_fma_f64 v[54:55], -v[28:29], v[34:35], 1.0
	v_fma_f64 v[42:43], v[36:37], v[42:43], s[34:35]
	s_mov_b32 s34, 0x11110bb3
	s_mov_b32 s35, 0x3f811111
	v_fma_f64 v[32:33], v[32:33], v[52:53], v[32:33]
	v_fma_f64 v[38:39], v[30:31], v[38:39], s[34:35]
	v_div_scale_f64 v[52:53], s1, v[18:19], v[26:27], v[18:19]
	v_fma_f64 v[40:41], v[36:37], v[40:41], s[34:35]
	v_fma_f64 v[46:47], v[30:31], v[46:47], s[36:37]
	v_rsq_f64_e32 v[58:59], v[1:2]
	v_add_f64 v[64:65], -v[50:51], 1.0
	v_add_f64 v[70:71], -v[56:57], 1.0
	s_mov_b32 s34, 0x16c16967
	s_mov_b32 s35, 0xbf56c16c
	v_fma_f64 v[34:35], v[34:35], v[54:55], v[34:35]
	v_mul_f64 v[54:55], v[9:10], -v[36:37]
	v_fma_f64 v[42:43], v[36:37], v[42:43], s[36:37]
	v_fma_f64 v[38:39], v[62:63], v[38:39], v[60:61]
	v_mul_f64 v[60:61], v[68:69], v[32:33]
	v_fma_f64 v[46:47], v[30:31], v[46:47], s[34:35]
	v_add_f64 v[48:49], v[64:65], -v[48:49]
	v_mul_f64 v[72:73], v[1:2], v[58:59]
	v_mul_f64 v[58:59], v[58:59], 0.5
	v_add_f64 v[44:45], v[70:71], -v[44:45]
	v_mul_f64 v[64:65], v[52:53], v[34:35]
	v_fma_f64 v[40:41], v[54:55], v[40:41], v[66:67]
	v_fma_f64 v[42:43], v[36:37], v[42:43], s[34:35]
	s_mov_b32 s34, 0x55555555
	s_mov_b32 s35, 0x3fa55555
	v_mul_f64 v[66:67], v[30:31], v[30:31]
	v_fma_f64 v[20:21], -v[20:21], v[60:61], v[68:69]
	v_fma_f64 v[46:47], v[30:31], v[46:47], s[34:35]
	v_fma_f64 v[48:49], v[5:6], -v[7:8], v[48:49]
	v_fma_f64 v[7:8], v[30:31], v[38:39], -v[7:8]
	v_fma_f64 v[70:71], -v[58:59], v[72:73], 0.5
	v_mul_f64 v[38:39], v[36:37], v[36:37]
	v_fma_f64 v[28:29], -v[28:29], v[64:65], v[52:53]
	v_fma_f64 v[30:31], v[36:37], v[40:41], -v[11:12]
	v_fma_f64 v[36:37], v[36:37], v[42:43], s[34:35]
	v_fma_f64 v[11:12], v[9:10], -v[11:12], v[44:45]
	s_mov_b32 s35, 0xbfc55555
	v_div_fmas_f64 v[20:21], v[20:21], v[32:33], v[60:61]
	s_mov_b32 vcc_lo, s1
	v_cmp_class_f64_e64 s1, v[3:4], 0x1f8
	v_and_b32_e32 v3, 1, v15
	v_lshlrev_b32_e32 v15, 30, v15
	v_fma_f64 v[42:43], v[66:67], v[46:47], v[48:49]
	v_fma_f64 v[7:8], v[62:63], s[34:35], v[7:8]
	;; [unrolled: 1-line block ×4, first 2 shown]
	v_cmp_eq_u32_e64 s2, 0, v3
	v_div_fmas_f64 v[28:29], v[28:29], v[34:35], v[64:65]
	v_fma_f64 v[30:31], v[54:55], s[34:35], v[30:31]
	v_fma_f64 v[11:12], v[38:39], v[36:37], v[11:12]
	v_add_f64 v[36:37], v[50:51], v[42:43]
	v_add_f64 v[5:6], v[5:6], -v[7:8]
	v_fma_f64 v[34:35], -v[40:41], v[40:41], v[1:2]
	v_div_fixup_f64 v[7:8], v[28:29], v[26:27], v[18:19]
	v_add_f64 v[9:10], v[9:10], -v[30:31]
	v_and_b32_e32 v26, 1, v14
	v_add_f64 v[11:12], v[56:57], v[11:12]
	v_cmp_eq_u32_e32 vcc_lo, 0, v26
	v_cndmask_b32_e32 v5, v36, v5, vcc_lo
	v_fma_f64 v[18:19], v[34:35], v[32:33], v[40:41]
	v_mul_f64 v[7:8], v[16:17], v[7:8]
	v_xor_b32_e32 v3, 0x80000000, v10
	v_and_b32_e32 v10, 0x80000000, v15
	v_cndmask_b32_e64 v11, v9, v11, s2
	v_cndmask_b32_e64 v3, v3, v12, s2
	v_cndmask_b32_e64 v11, 0, v11, s1
	v_xor_b32_e32 v12, v3, v10
	v_cndmask_b32_e64 v3, 0, v5, s1
	v_lshlrev_b32_e32 v5, 30, v14
	v_fma_f64 v[9:10], -v[18:19], v[18:19], v[1:2]
	v_div_fixup_f64 v[14:15], v[20:21], v[22:23], v[24:25]
	v_cndmask_b32_e64 v12, 0x7ff80000, v12, s1
	v_xor_b32_e32 v4, v5, v4
	v_cndmask_b32_e32 v5, v37, v6, vcc_lo
	v_cmp_class_f64_e64 vcc_lo, v[1:2], 0x260
	v_mul_f64 v[7:8], v[7:8], v[11:12]
	v_and_b32_e32 v4, 0x80000000, v4
	v_xor_b32_e32 v4, v5, v4
	v_cndmask_b32_e64 v4, 0x7ff80000, v4, s1
	v_fma_f64 v[5:6], v[9:10], v[32:33], v[18:19]
	v_fma_f64 v[3:4], v[14:15], v[3:4], v[7:8]
	v_cndmask_b32_e64 v7, 0, 0xffffff80, s0
	s_mov_b32 s0, 0x33d43651
	s_mov_b32 s1, 0x3fe98845
	v_ldexp_f64 v[5:6], v[5:6], v7
	v_mul_f64 v[3:4], v[3:4], s[0:1]
	v_cndmask_b32_e32 v2, v6, v2, vcc_lo
	v_cndmask_b32_e32 v1, v5, v1, vcc_lo
	v_div_scale_f64 v[5:6], null, v[1:2], v[1:2], v[3:4]
	v_rcp_f64_e32 v[7:8], v[5:6]
	v_fma_f64 v[9:10], -v[5:6], v[7:8], 1.0
	v_fma_f64 v[7:8], v[7:8], v[9:10], v[7:8]
	v_fma_f64 v[9:10], -v[5:6], v[7:8], 1.0
	v_fma_f64 v[7:8], v[7:8], v[9:10], v[7:8]
	v_div_scale_f64 v[9:10], vcc_lo, v[3:4], v[1:2], v[3:4]
	v_mul_f64 v[11:12], v[9:10], v[7:8]
	v_fma_f64 v[5:6], -v[5:6], v[11:12], v[9:10]
	v_div_fmas_f64 v[5:6], v[5:6], v[7:8], v[11:12]
	v_div_fixup_f64 v[3:4], v[5:6], v[1:2], v[3:4]
.LBB7_221:
	s_or_b32 exec_lo, exec_lo, s3
	v_add_nc_u32_e32 v13, 0x80, v13
	global_store_dwordx2 v0, v[3:4], s[4:5]
	s_or_b32 exec_lo, exec_lo, s30
	v_cmp_gt_i32_e32 vcc_lo, s27, v13
	s_and_saveexec_b32 s27, vcc_lo
	s_cbranch_execz .LBB7_196
.LBB7_222:
	s_andn2_b32 vcc_lo, exec_lo, s24
	s_cbranch_vccnz .LBB7_227
; %bb.223:
	s_andn2_b32 vcc_lo, exec_lo, s29
	s_cbranch_vccnz .LBB7_228
; %bb.224:
	s_add_i32 s28, s28, 1
	s_cmp_eq_u32 s23, 2
	s_cbranch_scc1 .LBB7_229
; %bb.225:
	v_mov_b32_e32 v2, 0
	v_mov_b32_e32 v0, 0
	;; [unrolled: 1-line block ×3, first 2 shown]
	s_and_b32 s2, s28, 28
	s_mov_b32 s3, 0
	s_mov_b64 s[0:1], s[16:17]
.LBB7_226:                              ; =>This Inner Loop Header: Depth=1
	s_clause 0x1
	s_load_dwordx8 s[36:43], s[0:1], 0x4
	s_load_dwordx4 s[52:55], s[0:1], 0x24
	s_load_dwordx8 s[44:51], s[20:21], 0x0
	s_add_u32 s0, s0, 48
	s_addc_u32 s1, s1, 0
	s_add_i32 s3, s3, 4
	s_add_u32 s20, s20, 32
	s_addc_u32 s21, s21, 0
	s_cmp_eq_u32 s2, s3
	s_waitcnt lgkmcnt(0)
	v_mul_hi_u32 v3, s37, v1
	v_add_nc_u32_e32 v3, v1, v3
	v_lshrrev_b32_e32 v3, s38, v3
	v_mul_hi_u32 v4, s40, v3
	v_mul_lo_u32 v6, v3, s36
	v_add_nc_u32_e32 v4, v3, v4
	v_sub_nc_u32_e32 v1, v1, v6
	v_lshrrev_b32_e32 v4, s41, v4
	v_mul_lo_u32 v6, v1, s44
	v_mul_lo_u32 v8, v1, s45
	v_mul_hi_u32 v5, s43, v4
	v_add_nc_u32_e32 v5, v4, v5
	v_lshrrev_b32_e32 v5, s52, v5
	v_mul_hi_u32 v7, s54, v5
	v_mul_lo_u32 v9, v5, s42
	v_add_nc_u32_e32 v1, v5, v7
	v_mul_lo_u32 v7, v4, s39
	v_sub_nc_u32_e32 v4, v4, v9
	v_lshrrev_b32_e32 v1, s55, v1
	v_mul_lo_u32 v9, v4, s48
	v_mul_lo_u32 v4, v4, s49
	v_sub_nc_u32_e32 v3, v3, v7
	v_mul_lo_u32 v10, v1, s53
	v_mul_lo_u32 v7, v3, s46
	;; [unrolled: 1-line block ×3, first 2 shown]
	v_sub_nc_u32_e32 v5, v5, v10
	v_add3_u32 v0, v6, v0, v7
	v_mul_lo_u32 v10, v5, s50
	v_mul_lo_u32 v5, v5, s51
	v_add3_u32 v2, v8, v2, v3
	v_add3_u32 v0, v9, v0, v10
	;; [unrolled: 1-line block ×3, first 2 shown]
	s_cbranch_scc0 .LBB7_226
	s_branch .LBB7_230
.LBB7_227:
                                        ; implicit-def: $vgpr0
                                        ; implicit-def: $vgpr2
	s_branch .LBB7_234
.LBB7_228:
	v_mov_b32_e32 v0, 0
	v_mov_b32_e32 v2, 0
	s_branch .LBB7_233
.LBB7_229:
	v_mov_b32_e32 v0, 0
	v_mov_b32_e32 v2, 0
	;; [unrolled: 1-line block ×3, first 2 shown]
	s_mov_b32 s2, 0
.LBB7_230:
	s_and_b32 s20, s28, 3
	s_cmp_eq_u32 s20, 0
	s_cbranch_scc1 .LBB7_233
; %bb.231:
	s_lshl_b32 s0, s2, 3
	s_mul_i32 s2, s2, 12
	s_add_u32 s0, s16, s0
	s_addc_u32 s1, s17, 0
	s_add_u32 s0, s0, 0xc4
	s_addc_u32 s1, s1, 0
	;; [unrolled: 2-line block ×3, first 2 shown]
	.p2align	6
.LBB7_232:                              ; =>This Inner Loop Header: Depth=1
	s_clause 0x1
	s_load_dwordx2 s[28:29], s[2:3], 0x4
	s_load_dword s21, s[2:3], 0xc
	s_load_dwordx2 s[30:31], s[0:1], 0x0
	s_add_u32 s2, s2, 12
	s_addc_u32 s3, s3, 0
	s_add_u32 s0, s0, 8
	s_addc_u32 s1, s1, 0
	s_add_i32 s20, s20, -1
	s_cmp_lg_u32 s20, 0
	s_waitcnt lgkmcnt(0)
	v_mul_hi_u32 v3, s29, v1
	v_add_nc_u32_e32 v3, v1, v3
	v_lshrrev_b32_e32 v4, s21, v3
	v_mul_lo_u32 v3, v4, s28
	v_sub_nc_u32_e32 v3, v1, v3
	v_mad_u64_u32 v[0:1], null, v3, s30, v[0:1]
	v_mad_u64_u32 v[2:3], null, v3, s31, v[2:3]
	v_mov_b32_e32 v1, v4
	s_cbranch_scc1 .LBB7_232
.LBB7_233:
	s_cbranch_execnz .LBB7_236
.LBB7_234:
	s_waitcnt lgkmcnt(0)
	v_mul_hi_u32 v0, s13, v13
	s_andn2_b32 vcc_lo, exec_lo, s26
	v_add_nc_u32_e32 v0, v13, v0
	v_lshrrev_b32_e32 v1, s14, v0
	v_mul_lo_u32 v0, v1, s12
	v_sub_nc_u32_e32 v2, v13, v0
	v_mul_lo_u32 v0, v2, s8
	v_mul_lo_u32 v2, v2, s9
	s_cbranch_vccnz .LBB7_236
; %bb.235:
	v_mul_hi_u32 v3, s18, v1
	v_add_nc_u32_e32 v3, v1, v3
	v_lshrrev_b32_e32 v3, s19, v3
	v_mul_lo_u32 v3, v3, s15
	v_sub_nc_u32_e32 v3, v1, v3
	v_mad_u64_u32 v[0:1], null, v3, s10, v[0:1]
	v_mad_u64_u32 v[2:3], null, v3, s11, v[2:3]
.LBB7_236:
	s_waitcnt lgkmcnt(0)
	global_load_dwordx2 v[1:2], v2, s[6:7]
                                        ; implicit-def: $vgpr3_vgpr4
	s_mov_b32 s0, exec_lo
	s_waitcnt vmcnt(0)
	v_cmpx_ge_f64_e32 0x40140000, v[1:2]
	s_xor_b32 s2, exec_lo, s0
	s_cbranch_execz .LBB7_242
; %bb.237:
	v_mov_b32_e32 v3, 0
	v_mov_b32_e32 v4, 0xfff00000
	s_mov_b32 s3, exec_lo
	v_cmpx_neq_f64_e32 0, v[1:2]
	s_cbranch_execz .LBB7_241
; %bb.238:
	v_mov_b32_e32 v3, 0
	v_mov_b32_e32 v4, 0x7ff80000
	s_mov_b32 s6, exec_lo
	v_cmpx_nge_f64_e32 0, v[1:2]
	s_cbranch_execz .LBB7_240
; %bb.239:
	v_frexp_mant_f64_e32 v[3:4], v[1:2]
	s_mov_b32 s1, 0x3fe55555
	s_mov_b32 s0, 0x55555555
	;; [unrolled: 1-line block ×8, first 2 shown]
	v_frexp_exp_i32_f64_e32 v25, v[1:2]
	s_mov_b32 s14, 0xfefa39ef
	s_mov_b32 s15, 0x3fe62e42
	v_cmp_gt_f64_e32 vcc_lo, s[0:1], v[3:4]
	s_mov_b32 s0, 0x55555780
	v_cndmask_b32_e64 v5, 0, 1, vcc_lo
	v_ldexp_f64 v[3:4], v[3:4], v5
	v_add_f64 v[5:6], v[3:4], 1.0
	v_add_f64 v[11:12], v[3:4], -1.0
	v_rcp_f64_e32 v[7:8], v[5:6]
	v_add_f64 v[13:14], v[5:6], -1.0
	v_add_f64 v[3:4], v[3:4], -v[13:14]
	v_fma_f64 v[9:10], -v[5:6], v[7:8], 1.0
	v_fma_f64 v[7:8], v[9:10], v[7:8], v[7:8]
	v_fma_f64 v[9:10], -v[5:6], v[7:8], 1.0
	v_fma_f64 v[7:8], v[9:10], v[7:8], v[7:8]
	v_mul_f64 v[9:10], v[11:12], v[7:8]
	v_mul_f64 v[15:16], v[5:6], v[9:10]
	v_fma_f64 v[5:6], v[9:10], v[5:6], -v[15:16]
	v_fma_f64 v[3:4], v[9:10], v[3:4], v[5:6]
	v_add_f64 v[5:6], v[15:16], v[3:4]
	v_add_f64 v[13:14], v[11:12], -v[5:6]
	v_add_f64 v[15:16], v[5:6], -v[15:16]
	;; [unrolled: 1-line block ×5, first 2 shown]
	v_add_f64 v[3:4], v[3:4], v[5:6]
	v_add_f64 v[3:4], v[13:14], v[3:4]
	v_mul_f64 v[13:14], v[1:2], v[1:2]
	v_mul_f64 v[3:4], v[7:8], v[3:4]
	v_add_f64 v[5:6], v[9:10], v[3:4]
	v_mul_f64 v[7:8], v[5:6], v[5:6]
	v_ldexp_f64 v[23:24], v[5:6], 1
	v_fma_f64 v[11:12], v[7:8], s[10:11], s[8:9]
	s_mov_b32 s8, 0xd7f4df2e
	s_mov_b32 s9, 0x3fc7474d
	;; [unrolled: 1-line block ×4, first 2 shown]
	v_mul_f64 v[21:22], v[5:6], v[7:8]
	v_fma_f64 v[17:18], v[13:14], 0, s[10:11]
	s_mov_b32 s10, 0xdd701b2
	s_mov_b32 s11, 0x410f5eda
	v_add_f64 v[5:6], v[5:6], -v[9:10]
	v_fma_f64 v[11:12], v[7:8], v[11:12], s[8:9]
	s_mov_b32 s8, 0xa93f7ac2
	s_mov_b32 s9, 0x40829269
	v_fma_f64 v[15:16], v[13:14], 0, s[8:9]
	s_mov_b32 s8, 0x16291751
	s_mov_b32 s9, 0x3fcc71c0
	;; [unrolled: 3-line block ×3, first 2 shown]
	v_add_f64 v[3:4], v[3:4], -v[5:6]
	v_fma_f64 v[11:12], v[7:8], v[11:12], s[8:9]
	s_mov_b32 s8, 0xbe58ef7f
	s_mov_b32 s9, 0x410cc160
	v_fma_f64 v[15:16], v[13:14], v[15:16], s[8:9]
	s_mov_b32 s8, 0x9b27acf1
	s_mov_b32 s9, 0x3fd24924
	;; [unrolled: 3-line block ×3, first 2 shown]
	v_ldexp_f64 v[3:4], v[3:4], 1
	v_fma_f64 v[11:12], v[7:8], v[11:12], s[8:9]
	s_mov_b32 s8, 0x62f9b6c5
	s_mov_b32 s9, 0x41d2d2be
	v_fma_f64 v[19:20], v[13:14], 0, s[8:9]
	v_fma_f64 v[15:16], v[13:14], v[15:16], s[10:11]
	s_mov_b32 s8, 0x998ef7b6
	s_mov_b32 s9, 0x3fd99999
	;; [unrolled: 1-line block ×4, first 2 shown]
	v_fma_f64 v[17:18], v[13:14], v[17:18], s[12:13]
	s_mov_b32 s12, 0x8076ffa8
	s_mov_b32 s13, 0x429146fb
	v_fma_f64 v[11:12], v[7:8], v[11:12], s[8:9]
	s_mov_b32 s8, 0x58836521
	s_mov_b32 s9, 0xc262d72d
	v_fma_f64 v[19:20], v[13:14], v[19:20], s[8:9]
	v_fma_f64 v[15:16], v[13:14], v[15:16], s[10:11]
	s_mov_b32 s8, 0xfda99316
	s_mov_b32 s10, 0x4cda4fc5
	;; [unrolled: 1-line block ×4, first 2 shown]
	v_fma_f64 v[17:18], v[13:14], v[17:18], s[12:13]
	s_mov_b32 s12, 0x3eccf45f
	s_mov_b32 s13, 0x43064b0a
	v_fma_f64 v[7:8], v[7:8], v[11:12], s[0:1]
	s_mov_b32 s0, 0xb0910fef
	s_mov_b32 s1, 0x42da0954
	v_fma_f64 v[11:12], v[13:14], v[19:20], s[0:1]
	v_fma_f64 v[15:16], v[13:14], v[15:16], s[8:9]
	;; [unrolled: 1-line block ×3, first 2 shown]
	s_mov_b32 s0, 0x37a1b083
	s_mov_b32 s8, 0xd71d1e4e
	;; [unrolled: 1-line block ×6, first 2 shown]
	v_fma_f64 v[17:18], v[13:14], v[17:18], s[12:13]
	s_mov_b32 s12, 0xf4653f81
	s_mov_b32 s13, 0x4373e0bf
	v_mul_f64 v[7:8], v[21:22], v[7:8]
	v_subrev_co_ci_u32_e64 v21, null, 0, v25, vcc_lo
	v_fma_f64 v[11:12], v[13:14], v[11:12], s[0:1]
	v_fma_f64 v[15:16], v[13:14], v[15:16], s[8:9]
	;; [unrolled: 1-line block ×3, first 2 shown]
	v_cvt_f64_i32_e32 v[21:22], v21
	s_mov_b32 s0, 0xb7366b1
	s_mov_b32 s8, 0xc547a488
	s_mov_b32 s10, 0xe6ccf175
	s_mov_b32 s1, 0x438679ad
	s_mov_b32 s9, 0x436e83e3
	s_mov_b32 s11, 0xc2d08a92
	v_fma_f64 v[17:18], v[13:14], v[17:18], s[12:13]
	s_mov_b32 s12, 0xa697c482
	s_mov_b32 s13, 0x432a2b42
	v_add_f64 v[9:10], v[23:24], v[7:8]
	v_fma_f64 v[11:12], v[13:14], v[11:12], s[0:1]
	v_fma_f64 v[15:16], v[13:14], v[15:16], s[8:9]
	;; [unrolled: 1-line block ×3, first 2 shown]
	v_mul_f64 v[25:26], v[21:22], s[14:15]
	s_mov_b32 s0, 0x90f6747f
	s_mov_b32 s8, 0x5dde2b17
	;; [unrolled: 1-line block ×6, first 2 shown]
	v_add_f64 v[5:6], v[9:10], -v[23:24]
	v_fma_f64 v[11:12], v[13:14], v[11:12], s[8:9]
	v_fma_f64 v[15:16], v[13:14], v[15:16], s[0:1]
	;; [unrolled: 1-line block ×4, first 2 shown]
	v_fma_f64 v[17:18], v[21:22], s[14:15], -v[25:26]
	s_mov_b32 s0, 0x3b39803f
	s_mov_b32 s1, 0x3c7abc9e
	v_add_f64 v[5:6], v[7:8], -v[5:6]
	v_div_scale_f64 v[7:8], null, v[15:16], v[15:16], v[11:12]
	v_div_scale_f64 v[23:24], null, v[13:14], v[13:14], v[19:20]
	v_fma_f64 v[17:18], v[21:22], s[0:1], v[17:18]
	v_add_f64 v[3:4], v[3:4], v[5:6]
	v_rcp_f64_e32 v[5:6], v[7:8]
	v_rcp_f64_e32 v[21:22], v[23:24]
	v_add_f64 v[27:28], v[25:26], v[17:18]
	v_add_f64 v[29:30], v[9:10], v[3:4]
	v_fma_f64 v[31:32], -v[7:8], v[5:6], 1.0
	v_fma_f64 v[33:34], -v[23:24], v[21:22], 1.0
	v_add_f64 v[25:26], v[27:28], -v[25:26]
	v_add_f64 v[35:36], v[27:28], v[29:30]
	v_add_f64 v[9:10], v[29:30], -v[9:10]
	v_fma_f64 v[5:6], v[5:6], v[31:32], v[5:6]
	v_fma_f64 v[21:22], v[21:22], v[33:34], v[21:22]
	v_div_scale_f64 v[33:34], null, v[1:2], v[1:2], -1.0
	v_add_f64 v[17:18], v[17:18], -v[25:26]
	v_div_scale_f64 v[25:26], vcc_lo, v[11:12], v[15:16], v[11:12]
	v_add_f64 v[31:32], v[35:36], -v[27:28]
	v_add_f64 v[3:4], v[3:4], -v[9:10]
	v_fma_f64 v[37:38], -v[7:8], v[5:6], 1.0
	v_fma_f64 v[39:40], -v[23:24], v[21:22], 1.0
	v_rcp_f64_e32 v[43:44], v[33:34]
	v_add_f64 v[41:42], v[35:36], -v[31:32]
	v_add_f64 v[9:10], v[29:30], -v[31:32]
	v_fma_f64 v[5:6], v[5:6], v[37:38], v[5:6]
	v_div_scale_f64 v[37:38], s0, v[19:20], v[13:14], v[19:20]
	v_fma_f64 v[21:22], v[21:22], v[39:40], v[21:22]
	v_fma_f64 v[29:30], -v[33:34], v[43:44], 1.0
	v_add_f64 v[27:28], v[27:28], -v[41:42]
	v_add_f64 v[41:42], v[17:18], v[3:4]
	v_mul_f64 v[31:32], v[25:26], v[5:6]
	v_mul_f64 v[39:40], v[37:38], v[21:22]
	v_add_f64 v[9:10], v[9:10], v[27:28]
	v_fma_f64 v[27:28], v[43:44], v[29:30], v[43:44]
	v_fma_f64 v[7:8], -v[7:8], v[31:32], v[25:26]
	v_add_f64 v[25:26], v[41:42], -v[17:18]
	v_fma_f64 v[23:24], -v[23:24], v[39:40], v[37:38]
	v_add_f64 v[9:10], v[41:42], v[9:10]
	v_fma_f64 v[29:30], -v[33:34], v[27:28], 1.0
	v_div_fmas_f64 v[5:6], v[7:8], v[5:6], v[31:32]
	s_mov_b32 vcc_lo, s0
	v_add_f64 v[3:4], v[3:4], -v[25:26]
	v_div_fmas_f64 v[7:8], v[23:24], v[21:22], v[39:40]
	v_add_f64 v[21:22], v[41:42], -v[25:26]
	v_div_scale_f64 v[31:32], vcc_lo, -1.0, v[1:2], -1.0
	s_mov_b32 s0, 0x4189822c
	s_mov_b32 s1, 0xc02d5d2b
	v_add_f64 v[23:24], v[35:36], v[9:10]
	v_fma_f64 v[27:28], v[27:28], v[29:30], v[27:28]
	v_div_fixup_f64 v[5:6], v[5:6], v[15:16], v[11:12]
	v_div_fixup_f64 v[7:8], v[7:8], v[13:14], v[19:20]
	v_add_f64 v[13:14], v[17:18], -v[21:22]
	v_fma_f64 v[21:22], v[1:2], v[1:2], s[0:1]
	s_mov_b32 s0, 0x6072a432
	s_mov_b32 s1, 0xc0489bf6
	v_add_f64 v[17:18], v[23:24], -v[35:36]
	v_mul_f64 v[19:20], v[31:32], v[27:28]
	v_mul_f64 v[7:8], v[1:2], v[7:8]
	v_add_f64 v[3:4], v[3:4], v[13:14]
	v_add_f64 v[9:10], v[9:10], -v[17:18]
	v_fma_f64 v[13:14], -v[33:34], v[19:20], v[31:32]
	v_fma_f64 v[17:18], v[1:2], v[1:2], s[0:1]
	s_mov_b32 s0, 0x6dc9c883
	s_mov_b32 s1, 0x3fe45f30
	v_mul_f64 v[7:8], v[21:22], v[7:8]
	v_add_f64 v[3:4], v[3:4], v[9:10]
	v_div_fmas_f64 v[9:10], v[13:14], v[27:28], v[19:20]
	v_mul_f64 v[7:8], v[17:18], v[7:8]
	v_add_f64 v[3:4], v[23:24], v[3:4]
	v_div_fixup_f64 v[9:10], v[9:10], v[1:2], -1.0
	v_fma_f64 v[3:4], v[7:8], v[3:4], v[9:10]
	v_mul_f64 v[3:4], v[3:4], s[0:1]
	v_fma_f64 v[3:4], v[1:2], v[5:6], v[3:4]
.LBB7_240:
	s_or_b32 exec_lo, exec_lo, s6
.LBB7_241:
	s_or_b32 exec_lo, exec_lo, s3
                                        ; implicit-def: $vgpr1_vgpr2
.LBB7_242:
	s_andn2_saveexec_b32 s3, s2
	s_cbranch_execz .LBB7_252
; %bb.243:
	s_mov_b32 s0, 0x7f3321d2
	s_mov_b32 s1, 0xc002d97c
                                        ; implicit-def: $vgpr13
                                        ; implicit-def: $vgpr5_vgpr6
                                        ; implicit-def: $vgpr7_vgpr8
	v_add_f64 v[3:4], v[1:2], s[0:1]
	v_cmp_ngt_f64_e64 s0, 0x41d00000, |v[3:4]|
	s_and_saveexec_b32 s1, s0
	s_xor_b32 s1, exec_lo, s1
	s_cbranch_execz .LBB7_245
; %bb.244:
	v_ldexp_f64 v[5:6], |v[3:4]|, 0xffffff80
	v_cmp_le_f64_e64 vcc_lo, 0x7b000000, |v[3:4]|
	v_trig_preop_f64 v[7:8], |v[3:4]|, 0
	v_and_b32_e32 v9, 0x7fffffff, v4
	v_trig_preop_f64 v[19:20], |v[3:4]|, 2
	v_mov_b32_e32 v27, 0
	s_mov_b32 s6, 0x54442d18
	s_mov_b32 s7, 0x3ff921fb
	;; [unrolled: 1-line block ×4, first 2 shown]
	v_cndmask_b32_e32 v6, v9, v6, vcc_lo
	v_cndmask_b32_e32 v5, v3, v5, vcc_lo
	v_trig_preop_f64 v[9:10], |v[3:4]|, 1
	v_mul_f64 v[11:12], v[7:8], v[5:6]
	v_mul_f64 v[25:26], v[19:20], v[5:6]
	v_mul_f64 v[13:14], v[9:10], v[5:6]
	v_fma_f64 v[7:8], v[7:8], v[5:6], -v[11:12]
	v_fma_f64 v[9:10], v[9:10], v[5:6], -v[13:14]
	;; [unrolled: 1-line block ×3, first 2 shown]
	v_add_f64 v[15:16], v[13:14], v[7:8]
	v_add_f64 v[17:18], v[15:16], -v[13:14]
	v_add_f64 v[23:24], v[11:12], v[15:16]
	v_add_f64 v[21:22], v[15:16], -v[17:18]
	v_add_f64 v[7:8], v[7:8], -v[17:18]
	v_ldexp_f64 v[17:18], v[23:24], -2
	v_add_f64 v[11:12], v[23:24], -v[11:12]
	v_add_f64 v[13:14], v[13:14], -v[21:22]
	v_add_f64 v[21:22], v[25:26], v[9:10]
	v_cmp_neq_f64_e64 vcc_lo, 0x7ff00000, |v[17:18]|
	v_add_f64 v[11:12], v[15:16], -v[11:12]
	v_add_f64 v[7:8], v[7:8], v[13:14]
	v_fract_f64_e32 v[13:14], v[17:18]
	v_add_f64 v[15:16], v[21:22], v[7:8]
	v_ldexp_f64 v[13:14], v[13:14], 2
	v_add_f64 v[17:18], v[11:12], v[15:16]
	v_cndmask_b32_e32 v14, 0, v14, vcc_lo
	v_cndmask_b32_e32 v13, 0, v13, vcc_lo
	v_add_f64 v[23:24], v[17:18], v[13:14]
	v_add_f64 v[11:12], v[17:18], -v[11:12]
	v_cmp_gt_f64_e32 vcc_lo, 0, v[23:24]
	v_add_f64 v[23:24], v[21:22], -v[25:26]
	v_add_f64 v[11:12], v[15:16], -v[11:12]
	v_cndmask_b32_e64 v28, 0, 0x40100000, vcc_lo
	v_add_f64 v[32:33], v[21:22], -v[23:24]
	v_add_f64 v[9:10], v[9:10], -v[23:24]
	v_add_f64 v[13:14], v[13:14], v[27:28]
	v_add_f64 v[28:29], v[15:16], -v[21:22]
	v_add_f64 v[23:24], v[25:26], -v[32:33]
	v_add_f64 v[30:31], v[17:18], v[13:14]
	;; [unrolled: 3-line block ×3, first 2 shown]
	v_cvt_i32_f64_e32 v30, v[30:31]
	v_add_f64 v[21:22], v[21:22], -v[34:35]
	v_cvt_f64_i32_e32 v[28:29], v30
	v_add_f64 v[7:8], v[7:8], v[21:22]
	v_add_f64 v[13:14], v[13:14], -v[28:29]
	v_add_f64 v[7:8], v[9:10], v[7:8]
	v_add_f64 v[9:10], v[17:18], v[13:14]
	;; [unrolled: 1-line block ×3, first 2 shown]
	v_add_f64 v[7:8], v[9:10], -v[13:14]
	v_cmp_le_f64_e32 vcc_lo, 0.5, v[9:10]
	v_add_f64 v[5:6], v[11:12], v[5:6]
	v_add_f64 v[7:8], v[17:18], -v[7:8]
	v_cndmask_b32_e64 v28, 0, 0x3ff00000, vcc_lo
	v_add_co_ci_u32_e64 v13, null, 0, v30, vcc_lo
	v_add_f64 v[5:6], v[5:6], v[7:8]
	v_add_f64 v[7:8], v[9:10], -v[27:28]
	v_add_f64 v[9:10], v[7:8], v[5:6]
	v_mul_f64 v[11:12], v[9:10], s[6:7]
	v_add_f64 v[7:8], v[9:10], -v[7:8]
	v_fma_f64 v[14:15], v[9:10], s[6:7], -v[11:12]
	v_add_f64 v[5:6], v[5:6], -v[7:8]
	v_fma_f64 v[7:8], v[9:10], s[8:9], v[14:15]
	v_fma_f64 v[7:8], v[5:6], s[6:7], v[7:8]
	v_add_f64 v[5:6], v[11:12], v[7:8]
	v_add_f64 v[9:10], v[5:6], -v[11:12]
	v_add_f64 v[7:8], v[7:8], -v[9:10]
	s_andn2_saveexec_b32 s1, s1
	s_cbranch_execz .LBB7_247
	s_branch .LBB7_246
.LBB7_245:
	s_andn2_saveexec_b32 s1, s1
	s_cbranch_execz .LBB7_247
.LBB7_246:
	s_mov_b32 s6, 0x6dc9c883
	s_mov_b32 s7, 0x3fe45f30
	;; [unrolled: 1-line block ×3, first 2 shown]
	v_mul_f64 v[5:6], |v[3:4]|, s[6:7]
	s_mov_b32 s6, 0x54442d18
	s_mov_b32 s7, 0xbff921fb
	;; [unrolled: 1-line block ×3, first 2 shown]
	v_rndne_f64_e32 v[9:10], v[5:6]
	v_fma_f64 v[5:6], v[9:10], s[6:7], |v[3:4]|
	v_mul_f64 v[7:8], v[9:10], s[8:9]
	s_mov_b32 s6, 0x252049c0
	s_mov_b32 s7, 0xb97b839a
	v_fma_f64 v[13:14], v[9:10], s[8:9], v[5:6]
	v_add_f64 v[11:12], v[5:6], v[7:8]
	s_mov_b32 s9, 0x3c91a626
	v_add_f64 v[5:6], v[5:6], -v[11:12]
	v_add_f64 v[11:12], v[11:12], -v[13:14]
	v_add_f64 v[5:6], v[5:6], v[7:8]
	v_fma_f64 v[7:8], v[9:10], s[8:9], v[7:8]
	v_add_f64 v[5:6], v[11:12], v[5:6]
	v_add_f64 v[5:6], v[5:6], -v[7:8]
	v_fma_f64 v[7:8], v[9:10], s[6:7], v[5:6]
	v_add_f64 v[5:6], v[13:14], v[7:8]
	v_add_f64 v[11:12], v[5:6], -v[13:14]
	v_cvt_i32_f64_e32 v13, v[9:10]
	v_add_f64 v[7:8], v[7:8], -v[11:12]
.LBB7_247:
	s_or_b32 exec_lo, exec_lo, s1
                                        ; implicit-def: $vgpr14
                                        ; implicit-def: $vgpr9_vgpr10
                                        ; implicit-def: $vgpr11_vgpr12
	s_and_saveexec_b32 s1, s0
	s_xor_b32 s0, exec_lo, s1
	s_cbranch_execz .LBB7_249
; %bb.248:
	v_ldexp_f64 v[9:10], |v[3:4]|, 0xffffff80
	v_cmp_le_f64_e64 vcc_lo, 0x7b000000, |v[3:4]|
	v_trig_preop_f64 v[11:12], |v[3:4]|, 0
	v_and_b32_e32 v14, 0x7fffffff, v4
	v_trig_preop_f64 v[24:25], |v[3:4]|, 2
	v_mov_b32_e32 v32, 0
	s_mov_b32 s6, 0x54442d18
	s_mov_b32 s7, 0x3ff921fb
	;; [unrolled: 1-line block ×4, first 2 shown]
	v_cndmask_b32_e32 v10, v14, v10, vcc_lo
	v_cndmask_b32_e32 v9, v3, v9, vcc_lo
	v_trig_preop_f64 v[14:15], |v[3:4]|, 1
	v_mul_f64 v[16:17], v[11:12], v[9:10]
	v_mul_f64 v[30:31], v[24:25], v[9:10]
	v_mul_f64 v[18:19], v[14:15], v[9:10]
	v_fma_f64 v[11:12], v[11:12], v[9:10], -v[16:17]
	v_fma_f64 v[14:15], v[14:15], v[9:10], -v[18:19]
	;; [unrolled: 1-line block ×3, first 2 shown]
	v_add_f64 v[20:21], v[18:19], v[11:12]
	v_add_f64 v[22:23], v[20:21], -v[18:19]
	v_add_f64 v[28:29], v[16:17], v[20:21]
	v_add_f64 v[26:27], v[20:21], -v[22:23]
	v_add_f64 v[11:12], v[11:12], -v[22:23]
	v_ldexp_f64 v[22:23], v[28:29], -2
	v_add_f64 v[16:17], v[28:29], -v[16:17]
	v_add_f64 v[18:19], v[18:19], -v[26:27]
	v_add_f64 v[26:27], v[30:31], v[14:15]
	v_cmp_neq_f64_e64 vcc_lo, 0x7ff00000, |v[22:23]|
	v_add_f64 v[16:17], v[20:21], -v[16:17]
	v_add_f64 v[11:12], v[11:12], v[18:19]
	v_fract_f64_e32 v[18:19], v[22:23]
	v_add_f64 v[20:21], v[26:27], v[11:12]
	v_ldexp_f64 v[18:19], v[18:19], 2
	v_add_f64 v[22:23], v[16:17], v[20:21]
	v_cndmask_b32_e32 v19, 0, v19, vcc_lo
	v_cndmask_b32_e32 v18, 0, v18, vcc_lo
	v_add_f64 v[28:29], v[22:23], v[18:19]
	v_add_f64 v[16:17], v[22:23], -v[16:17]
	v_cmp_gt_f64_e32 vcc_lo, 0, v[28:29]
	v_add_f64 v[28:29], v[26:27], -v[30:31]
	v_cndmask_b32_e64 v33, 0, 0x40100000, vcc_lo
	v_add_f64 v[37:38], v[26:27], -v[28:29]
	v_add_f64 v[14:15], v[14:15], -v[28:29]
	v_add_f64 v[18:19], v[18:19], v[32:33]
	v_add_f64 v[33:34], v[20:21], -v[26:27]
	v_add_f64 v[28:29], v[30:31], -v[37:38]
	v_add_f64 v[35:36], v[22:23], v[18:19]
	;; [unrolled: 3-line block ×3, first 2 shown]
	v_cvt_i32_f64_e32 v35, v[35:36]
	v_add_f64 v[26:27], v[26:27], -v[39:40]
	v_cvt_f64_i32_e32 v[33:34], v35
	v_add_f64 v[11:12], v[11:12], v[26:27]
	v_add_f64 v[18:19], v[18:19], -v[33:34]
	v_add_f64 v[11:12], v[14:15], v[11:12]
	v_add_f64 v[14:15], v[20:21], -v[16:17]
	v_add_f64 v[24:25], v[22:23], v[18:19]
	v_add_f64 v[9:10], v[9:10], v[11:12]
	v_add_f64 v[11:12], v[24:25], -v[18:19]
	v_cmp_le_f64_e32 vcc_lo, 0.5, v[24:25]
	v_add_f64 v[9:10], v[14:15], v[9:10]
	v_add_f64 v[11:12], v[22:23], -v[11:12]
	v_cndmask_b32_e64 v33, 0, 0x3ff00000, vcc_lo
	v_add_co_ci_u32_e64 v14, null, 0, v35, vcc_lo
	v_add_f64 v[9:10], v[9:10], v[11:12]
	v_add_f64 v[11:12], v[24:25], -v[32:33]
	v_add_f64 v[15:16], v[11:12], v[9:10]
	v_mul_f64 v[17:18], v[15:16], s[6:7]
	v_add_f64 v[11:12], v[15:16], -v[11:12]
	v_fma_f64 v[19:20], v[15:16], s[6:7], -v[17:18]
	v_add_f64 v[9:10], v[9:10], -v[11:12]
	v_fma_f64 v[11:12], v[15:16], s[8:9], v[19:20]
	v_fma_f64 v[11:12], v[9:10], s[6:7], v[11:12]
	v_add_f64 v[9:10], v[17:18], v[11:12]
	v_add_f64 v[15:16], v[9:10], -v[17:18]
	v_add_f64 v[11:12], v[11:12], -v[15:16]
	s_andn2_saveexec_b32 s0, s0
	s_cbranch_execnz .LBB7_250
	s_branch .LBB7_251
.LBB7_249:
	s_andn2_saveexec_b32 s0, s0
	s_cbranch_execz .LBB7_251
.LBB7_250:
	s_mov_b32 s6, 0x6dc9c883
	s_mov_b32 s7, 0x3fe45f30
	;; [unrolled: 1-line block ×3, first 2 shown]
	v_mul_f64 v[9:10], |v[3:4]|, s[6:7]
	s_mov_b32 s6, 0x54442d18
	s_mov_b32 s7, 0xbff921fb
	;; [unrolled: 1-line block ×3, first 2 shown]
	v_rndne_f64_e32 v[14:15], v[9:10]
	v_fma_f64 v[9:10], v[14:15], s[6:7], |v[3:4]|
	v_mul_f64 v[11:12], v[14:15], s[8:9]
	s_mov_b32 s6, 0x252049c0
	s_mov_b32 s7, 0xb97b839a
	v_fma_f64 v[18:19], v[14:15], s[8:9], v[9:10]
	v_add_f64 v[16:17], v[9:10], v[11:12]
	s_mov_b32 s9, 0x3c91a626
	v_add_f64 v[9:10], v[9:10], -v[16:17]
	v_add_f64 v[16:17], v[16:17], -v[18:19]
	v_add_f64 v[9:10], v[9:10], v[11:12]
	v_fma_f64 v[11:12], v[14:15], s[8:9], v[11:12]
	v_add_f64 v[9:10], v[16:17], v[9:10]
	v_add_f64 v[9:10], v[9:10], -v[11:12]
	v_fma_f64 v[11:12], v[14:15], s[6:7], v[9:10]
	v_cvt_i32_f64_e32 v14, v[14:15]
	v_add_f64 v[9:10], v[18:19], v[11:12]
	v_add_f64 v[16:17], v[9:10], -v[18:19]
	v_add_f64 v[11:12], v[11:12], -v[16:17]
.LBB7_251:
	s_or_b32 exec_lo, exec_lo, s0
	v_div_scale_f64 v[15:16], null, v[1:2], v[1:2], 0x40140000
	v_div_scale_f64 v[21:22], vcc_lo, 0x40140000, v[1:2], 0x40140000
	s_mov_b32 s0, 0x6b70ba40
	s_mov_b32 s1, 0x3faa27fa
	;; [unrolled: 1-line block ×8, first 2 shown]
	v_mul_f64 v[29:30], v[5:6], v[5:6]
	v_mul_f64 v[35:36], v[9:10], v[9:10]
	v_mul_f64 v[59:60], v[7:8], 0.5
	v_mul_f64 v[65:66], v[11:12], 0.5
	v_rcp_f64_e32 v[17:18], v[15:16]
	v_mul_f64 v[47:48], v[29:30], 0.5
	v_mul_f64 v[61:62], v[5:6], -v[29:30]
	v_fma_f64 v[19:20], -v[15:16], v[17:18], 1.0
	v_fma_f64 v[17:18], v[17:18], v[19:20], v[17:18]
	v_fma_f64 v[19:20], -v[15:16], v[17:18], 1.0
	v_fma_f64 v[17:18], v[17:18], v[19:20], v[17:18]
	v_mul_f64 v[19:20], v[21:22], v[17:18]
	v_fma_f64 v[15:16], -v[15:16], v[19:20], v[21:22]
	v_div_fmas_f64 v[15:16], v[15:16], v[17:18], v[19:20]
	v_div_fixup_f64 v[15:16], v[15:16], v[1:2], 0x40140000
	v_mul_f64 v[17:18], v[15:16], v[15:16]
	v_fma_f64 v[19:20], v[17:18], 0, s[0:1]
	s_mov_b32 s0, 0x4c6c651b
	s_mov_b32 s1, 0x3f48f92c
	v_fma_f64 v[21:22], v[17:18], 0, s[6:7]
	v_fma_f64 v[23:24], v[17:18], 0, s[0:1]
	v_fma_f64 v[25:26], v[17:18], 0, s[10:11]
	s_mov_b32 s0, 0xa3fec4b6
	s_mov_b32 s6, 0x5948aa83
	s_mov_b32 s1, 0x3fb2b948
	s_mov_b32 s7, 0x3fb19fdd
	s_mov_b32 s10, 0xa20e5f6f
	s_mov_b32 s11, 0x409081cb
	v_fma_f64 v[19:20], v[17:18], v[19:20], s[8:9]
	s_mov_b32 s8, 0x9acf1c67
	s_mov_b32 s9, 0x4052f4b9
	v_fma_f64 v[21:22], v[17:18], v[21:22], s[6:7]
	v_fma_f64 v[23:24], v[17:18], v[23:24], s[0:1]
	v_fma_f64 v[25:26], v[17:18], v[25:26], s[10:11]
	s_mov_b32 s0, 0xc21596d6
	s_mov_b32 s6, 0xb850eed6
	s_mov_b32 s1, 0x3ff208fe
	s_mov_b32 s7, 0x3ff1aea9
	s_mov_b32 s10, 0x1bfdfe81
	s_mov_b32 s11, 0x40b37a69
	;; [unrolled: 12-line block ×5, first 2 shown]
	v_fma_f64 v[19:20], v[17:18], v[19:20], s[8:9]
	s_mov_b32 s8, 0x4c54bb0b
	s_mov_b32 s9, 0x406a760a
	v_fma_f64 v[21:22], v[17:18], v[21:22], s[6:7]
	v_fma_f64 v[23:24], v[17:18], v[23:24], s[0:1]
	;; [unrolled: 1-line block ×3, first 2 shown]
	s_mov_b32 s0, 0x4d159eb5
	s_mov_b32 s6, 0x6ae75997
	;; [unrolled: 1-line block ×4, first 2 shown]
	v_fma_f64 v[19:20], v[17:18], v[19:20], s[8:9]
	s_mov_b32 s8, 0x46cc5e42
	s_mov_b32 s9, 0xbda907db
	v_fma_f64 v[21:22], v[17:18], v[21:22], 1.0
	v_fma_f64 v[23:24], v[17:18], v[23:24], 1.0
	v_fma_f64 v[25:26], v[17:18], v[25:26], s[6:7]
	s_mov_b32 s6, 0xf9a43bb8
	s_mov_b32 s7, 0x3de5e0b2
	v_fma_f64 v[17:18], v[17:18], v[19:20], s[0:1]
	s_mov_b32 s0, 0xb42fdfa7
	s_mov_b32 s1, 0xbe5ae600
	v_div_scale_f64 v[19:20], null, v[21:22], v[21:22], v[23:24]
	v_fma_f64 v[37:38], v[29:30], s[6:7], s[0:1]
	v_fma_f64 v[43:44], v[35:36], s[6:7], s[0:1]
	s_mov_b32 s0, 0x796cde01
	s_mov_b32 s1, 0x3ec71de3
	;; [unrolled: 1-line block ×4, first 2 shown]
	v_div_scale_f64 v[67:68], vcc_lo, v[23:24], v[21:22], v[23:24]
	v_fma_f64 v[45:46], v[29:30], s[8:9], s[6:7]
	v_div_scale_f64 v[27:28], null, v[25:26], v[25:26], v[17:18]
	v_rcp_f64_e32 v[31:32], v[19:20]
	v_fma_f64 v[37:38], v[29:30], v[37:38], s[0:1]
	v_rcp_f64_e32 v[33:34], v[27:28]
	v_fma_f64 v[39:40], -v[19:20], v[31:32], 1.0
	v_fma_f64 v[41:42], -v[27:28], v[33:34], 1.0
	v_fma_f64 v[31:32], v[31:32], v[39:40], v[31:32]
	v_fma_f64 v[39:40], v[35:36], v[43:44], s[0:1]
	v_cmp_gt_f64_e64 s0, 0x10000000, v[1:2]
	v_mul_f64 v[43:44], v[35:36], 0.5
	v_fma_f64 v[33:34], v[33:34], v[41:42], v[33:34]
	v_fma_f64 v[41:42], v[35:36], s[8:9], s[6:7]
	s_mov_b32 s8, 0x19e83e5c
	s_mov_b32 s9, 0xbf2a01a0
	v_fma_f64 v[51:52], -v[19:20], v[31:32], 1.0
	v_fma_f64 v[37:38], v[29:30], v[37:38], s[8:9]
	v_cndmask_b32_e64 v49, 0, 0x100, s0
	s_mov_b32 s6, 0xa17f65f6
	s_mov_b32 s7, 0xbe927e4f
	v_fma_f64 v[39:40], v[35:36], v[39:40], s[8:9]
	v_fma_f64 v[45:46], v[29:30], v[45:46], s[6:7]
	v_ldexp_f64 v[1:2], v[1:2], v49
	v_add_f64 v[49:50], -v[47:48], 1.0
	v_add_f64 v[55:56], -v[43:44], 1.0
	s_mov_b32 s8, 0x19f4ec90
	s_mov_b32 s9, 0x3efa01a0
	v_fma_f64 v[53:54], -v[27:28], v[33:34], 1.0
	v_fma_f64 v[41:42], v[35:36], v[41:42], s[6:7]
	s_mov_b32 s6, 0x11110bb3
	s_mov_b32 s7, 0x3f811111
	v_fma_f64 v[31:32], v[31:32], v[51:52], v[31:32]
	v_fma_f64 v[37:38], v[29:30], v[37:38], s[6:7]
	v_div_scale_f64 v[51:52], s1, v[17:18], v[25:26], v[17:18]
	v_fma_f64 v[39:40], v[35:36], v[39:40], s[6:7]
	v_fma_f64 v[45:46], v[29:30], v[45:46], s[8:9]
	v_rsq_f64_e32 v[57:58], v[1:2]
	v_add_f64 v[63:64], -v[49:50], 1.0
	v_add_f64 v[69:70], -v[55:56], 1.0
	s_mov_b32 s6, 0x16c16967
	s_mov_b32 s7, 0xbf56c16c
	v_fma_f64 v[33:34], v[33:34], v[53:54], v[33:34]
	v_mul_f64 v[53:54], v[9:10], -v[35:36]
	v_fma_f64 v[41:42], v[35:36], v[41:42], s[8:9]
	v_fma_f64 v[37:38], v[61:62], v[37:38], v[59:60]
	v_mul_f64 v[59:60], v[67:68], v[31:32]
	v_fma_f64 v[45:46], v[29:30], v[45:46], s[6:7]
	v_add_f64 v[47:48], v[63:64], -v[47:48]
	v_mul_f64 v[71:72], v[1:2], v[57:58]
	v_mul_f64 v[57:58], v[57:58], 0.5
	v_add_f64 v[43:44], v[69:70], -v[43:44]
	v_mul_f64 v[63:64], v[51:52], v[33:34]
	v_fma_f64 v[39:40], v[53:54], v[39:40], v[65:66]
	v_fma_f64 v[41:42], v[35:36], v[41:42], s[6:7]
	s_mov_b32 s6, 0x55555555
	s_mov_b32 s7, 0x3fa55555
	v_mul_f64 v[65:66], v[29:30], v[29:30]
	v_fma_f64 v[19:20], -v[19:20], v[59:60], v[67:68]
	v_fma_f64 v[45:46], v[29:30], v[45:46], s[6:7]
	v_fma_f64 v[47:48], v[5:6], -v[7:8], v[47:48]
	v_fma_f64 v[7:8], v[29:30], v[37:38], -v[7:8]
	v_fma_f64 v[69:70], -v[57:58], v[71:72], 0.5
	v_mul_f64 v[37:38], v[35:36], v[35:36]
	v_fma_f64 v[27:28], -v[27:28], v[63:64], v[51:52]
	v_fma_f64 v[29:30], v[35:36], v[39:40], -v[11:12]
	v_fma_f64 v[35:36], v[35:36], v[41:42], s[6:7]
	v_fma_f64 v[11:12], v[9:10], -v[11:12], v[43:44]
	s_mov_b32 s7, 0xbfc55555
	v_div_fmas_f64 v[19:20], v[19:20], v[31:32], v[59:60]
	s_mov_b32 vcc_lo, s1
	v_cmp_class_f64_e64 s1, v[3:4], 0x1f8
	v_and_b32_e32 v3, 1, v14
	v_lshlrev_b32_e32 v14, 30, v14
	v_fma_f64 v[41:42], v[65:66], v[45:46], v[47:48]
	v_fma_f64 v[7:8], v[61:62], s[6:7], v[7:8]
	;; [unrolled: 1-line block ×4, first 2 shown]
	v_cmp_eq_u32_e64 s2, 0, v3
	v_div_fmas_f64 v[27:28], v[27:28], v[33:34], v[63:64]
	v_fma_f64 v[29:30], v[53:54], s[6:7], v[29:30]
	v_fma_f64 v[11:12], v[37:38], v[35:36], v[11:12]
	v_add_f64 v[35:36], v[49:50], v[41:42]
	v_add_f64 v[5:6], v[5:6], -v[7:8]
	v_fma_f64 v[33:34], -v[39:40], v[39:40], v[1:2]
	v_div_fixup_f64 v[7:8], v[27:28], v[25:26], v[17:18]
	v_add_f64 v[9:10], v[9:10], -v[29:30]
	v_and_b32_e32 v25, 1, v13
	v_add_f64 v[11:12], v[55:56], v[11:12]
	v_cmp_eq_u32_e32 vcc_lo, 0, v25
	v_cndmask_b32_e32 v5, v35, v5, vcc_lo
	v_fma_f64 v[17:18], v[33:34], v[31:32], v[39:40]
	v_mul_f64 v[7:8], v[15:16], v[7:8]
	v_xor_b32_e32 v3, 0x80000000, v10
	v_and_b32_e32 v10, 0x80000000, v14
	v_cndmask_b32_e64 v11, v9, v11, s2
	v_cndmask_b32_e64 v3, v3, v12, s2
	;; [unrolled: 1-line block ×3, first 2 shown]
	v_xor_b32_e32 v12, v3, v10
	v_cndmask_b32_e64 v3, 0, v5, s1
	v_lshlrev_b32_e32 v5, 30, v13
	v_fma_f64 v[9:10], -v[17:18], v[17:18], v[1:2]
	v_div_fixup_f64 v[13:14], v[19:20], v[21:22], v[23:24]
	v_cndmask_b32_e64 v12, 0x7ff80000, v12, s1
	v_xor_b32_e32 v4, v5, v4
	v_cndmask_b32_e32 v5, v36, v6, vcc_lo
	v_cmp_class_f64_e64 vcc_lo, v[1:2], 0x260
	v_mul_f64 v[7:8], v[7:8], v[11:12]
	v_and_b32_e32 v4, 0x80000000, v4
	v_xor_b32_e32 v4, v5, v4
	v_cndmask_b32_e64 v4, 0x7ff80000, v4, s1
	v_fma_f64 v[5:6], v[9:10], v[31:32], v[17:18]
	v_fma_f64 v[3:4], v[13:14], v[3:4], v[7:8]
	v_cndmask_b32_e64 v7, 0, 0xffffff80, s0
	s_mov_b32 s0, 0x33d43651
	s_mov_b32 s1, 0x3fe98845
	v_ldexp_f64 v[5:6], v[5:6], v7
	v_mul_f64 v[3:4], v[3:4], s[0:1]
	v_cndmask_b32_e32 v2, v6, v2, vcc_lo
	v_cndmask_b32_e32 v1, v5, v1, vcc_lo
	v_div_scale_f64 v[5:6], null, v[1:2], v[1:2], v[3:4]
	v_rcp_f64_e32 v[7:8], v[5:6]
	v_fma_f64 v[9:10], -v[5:6], v[7:8], 1.0
	v_fma_f64 v[7:8], v[7:8], v[9:10], v[7:8]
	v_fma_f64 v[9:10], -v[5:6], v[7:8], 1.0
	v_fma_f64 v[7:8], v[7:8], v[9:10], v[7:8]
	v_div_scale_f64 v[9:10], vcc_lo, v[3:4], v[1:2], v[3:4]
	v_mul_f64 v[11:12], v[9:10], v[7:8]
	v_fma_f64 v[5:6], -v[5:6], v[11:12], v[9:10]
	v_div_fmas_f64 v[5:6], v[5:6], v[7:8], v[11:12]
	v_div_fixup_f64 v[3:4], v[5:6], v[1:2], v[3:4]
.LBB7_252:
	s_or_b32 exec_lo, exec_lo, s3
	global_store_dwordx2 v0, v[3:4], s[4:5]
	s_or_b32 exec_lo, exec_lo, s27
                                        ; implicit-def: $vgpr12
                                        ; implicit-def: $vgpr13
	s_andn2_saveexec_b32 s0, s25
	s_cbranch_execz .LBB7_197
	s_branch .LBB7_8
	.section	.rodata,"a",@progbits
	.p2align	6, 0x0
	.amdhsa_kernel _ZN2at6native32elementwise_kernel_manual_unrollILi128ELi4EZNS0_22gpu_kernel_impl_nocastIZZZNS0_12_GLOBAL__N_121bessel_y1_kernel_cudaERNS_18TensorIteratorBaseEENKUlvE_clEvENKUlvE_clEvEUldE_EEvS5_RKT_EUlibE_EEviT1_
		.amdhsa_group_segment_fixed_size 0
		.amdhsa_private_segment_fixed_size 0
		.amdhsa_kernarg_size 360
		.amdhsa_user_sgpr_count 6
		.amdhsa_user_sgpr_private_segment_buffer 1
		.amdhsa_user_sgpr_dispatch_ptr 0
		.amdhsa_user_sgpr_queue_ptr 0
		.amdhsa_user_sgpr_kernarg_segment_ptr 1
		.amdhsa_user_sgpr_dispatch_id 0
		.amdhsa_user_sgpr_flat_scratch_init 0
		.amdhsa_user_sgpr_private_segment_size 0
		.amdhsa_wavefront_size32 1
		.amdhsa_uses_dynamic_stack 0
		.amdhsa_system_sgpr_private_segment_wavefront_offset 0
		.amdhsa_system_sgpr_workgroup_id_x 1
		.amdhsa_system_sgpr_workgroup_id_y 0
		.amdhsa_system_sgpr_workgroup_id_z 0
		.amdhsa_system_sgpr_workgroup_info 0
		.amdhsa_system_vgpr_workitem_id 0
		.amdhsa_next_free_vgpr 86
		.amdhsa_next_free_sgpr 56
		.amdhsa_reserve_vcc 1
		.amdhsa_reserve_flat_scratch 0
		.amdhsa_float_round_mode_32 0
		.amdhsa_float_round_mode_16_64 0
		.amdhsa_float_denorm_mode_32 3
		.amdhsa_float_denorm_mode_16_64 3
		.amdhsa_dx10_clamp 1
		.amdhsa_ieee_mode 1
		.amdhsa_fp16_overflow 0
		.amdhsa_workgroup_processor_mode 1
		.amdhsa_memory_ordered 1
		.amdhsa_forward_progress 1
		.amdhsa_shared_vgpr_count 0
		.amdhsa_exception_fp_ieee_invalid_op 0
		.amdhsa_exception_fp_denorm_src 0
		.amdhsa_exception_fp_ieee_div_zero 0
		.amdhsa_exception_fp_ieee_overflow 0
		.amdhsa_exception_fp_ieee_underflow 0
		.amdhsa_exception_fp_ieee_inexact 0
		.amdhsa_exception_int_div_zero 0
	.end_amdhsa_kernel
	.section	.text._ZN2at6native32elementwise_kernel_manual_unrollILi128ELi4EZNS0_22gpu_kernel_impl_nocastIZZZNS0_12_GLOBAL__N_121bessel_y1_kernel_cudaERNS_18TensorIteratorBaseEENKUlvE_clEvENKUlvE_clEvEUldE_EEvS5_RKT_EUlibE_EEviT1_,"axG",@progbits,_ZN2at6native32elementwise_kernel_manual_unrollILi128ELi4EZNS0_22gpu_kernel_impl_nocastIZZZNS0_12_GLOBAL__N_121bessel_y1_kernel_cudaERNS_18TensorIteratorBaseEENKUlvE_clEvENKUlvE_clEvEUldE_EEvS5_RKT_EUlibE_EEviT1_,comdat
.Lfunc_end7:
	.size	_ZN2at6native32elementwise_kernel_manual_unrollILi128ELi4EZNS0_22gpu_kernel_impl_nocastIZZZNS0_12_GLOBAL__N_121bessel_y1_kernel_cudaERNS_18TensorIteratorBaseEENKUlvE_clEvENKUlvE_clEvEUldE_EEvS5_RKT_EUlibE_EEviT1_, .Lfunc_end7-_ZN2at6native32elementwise_kernel_manual_unrollILi128ELi4EZNS0_22gpu_kernel_impl_nocastIZZZNS0_12_GLOBAL__N_121bessel_y1_kernel_cudaERNS_18TensorIteratorBaseEENKUlvE_clEvENKUlvE_clEvEUldE_EEvS5_RKT_EUlibE_EEviT1_
                                        ; -- End function
	.set _ZN2at6native32elementwise_kernel_manual_unrollILi128ELi4EZNS0_22gpu_kernel_impl_nocastIZZZNS0_12_GLOBAL__N_121bessel_y1_kernel_cudaERNS_18TensorIteratorBaseEENKUlvE_clEvENKUlvE_clEvEUldE_EEvS5_RKT_EUlibE_EEviT1_.num_vgpr, 86
	.set _ZN2at6native32elementwise_kernel_manual_unrollILi128ELi4EZNS0_22gpu_kernel_impl_nocastIZZZNS0_12_GLOBAL__N_121bessel_y1_kernel_cudaERNS_18TensorIteratorBaseEENKUlvE_clEvENKUlvE_clEvEUldE_EEvS5_RKT_EUlibE_EEviT1_.num_agpr, 0
	.set _ZN2at6native32elementwise_kernel_manual_unrollILi128ELi4EZNS0_22gpu_kernel_impl_nocastIZZZNS0_12_GLOBAL__N_121bessel_y1_kernel_cudaERNS_18TensorIteratorBaseEENKUlvE_clEvENKUlvE_clEvEUldE_EEvS5_RKT_EUlibE_EEviT1_.numbered_sgpr, 56
	.set _ZN2at6native32elementwise_kernel_manual_unrollILi128ELi4EZNS0_22gpu_kernel_impl_nocastIZZZNS0_12_GLOBAL__N_121bessel_y1_kernel_cudaERNS_18TensorIteratorBaseEENKUlvE_clEvENKUlvE_clEvEUldE_EEvS5_RKT_EUlibE_EEviT1_.num_named_barrier, 0
	.set _ZN2at6native32elementwise_kernel_manual_unrollILi128ELi4EZNS0_22gpu_kernel_impl_nocastIZZZNS0_12_GLOBAL__N_121bessel_y1_kernel_cudaERNS_18TensorIteratorBaseEENKUlvE_clEvENKUlvE_clEvEUldE_EEvS5_RKT_EUlibE_EEviT1_.private_seg_size, 0
	.set _ZN2at6native32elementwise_kernel_manual_unrollILi128ELi4EZNS0_22gpu_kernel_impl_nocastIZZZNS0_12_GLOBAL__N_121bessel_y1_kernel_cudaERNS_18TensorIteratorBaseEENKUlvE_clEvENKUlvE_clEvEUldE_EEvS5_RKT_EUlibE_EEviT1_.uses_vcc, 1
	.set _ZN2at6native32elementwise_kernel_manual_unrollILi128ELi4EZNS0_22gpu_kernel_impl_nocastIZZZNS0_12_GLOBAL__N_121bessel_y1_kernel_cudaERNS_18TensorIteratorBaseEENKUlvE_clEvENKUlvE_clEvEUldE_EEvS5_RKT_EUlibE_EEviT1_.uses_flat_scratch, 0
	.set _ZN2at6native32elementwise_kernel_manual_unrollILi128ELi4EZNS0_22gpu_kernel_impl_nocastIZZZNS0_12_GLOBAL__N_121bessel_y1_kernel_cudaERNS_18TensorIteratorBaseEENKUlvE_clEvENKUlvE_clEvEUldE_EEvS5_RKT_EUlibE_EEviT1_.has_dyn_sized_stack, 0
	.set _ZN2at6native32elementwise_kernel_manual_unrollILi128ELi4EZNS0_22gpu_kernel_impl_nocastIZZZNS0_12_GLOBAL__N_121bessel_y1_kernel_cudaERNS_18TensorIteratorBaseEENKUlvE_clEvENKUlvE_clEvEUldE_EEvS5_RKT_EUlibE_EEviT1_.has_recursion, 0
	.set _ZN2at6native32elementwise_kernel_manual_unrollILi128ELi4EZNS0_22gpu_kernel_impl_nocastIZZZNS0_12_GLOBAL__N_121bessel_y1_kernel_cudaERNS_18TensorIteratorBaseEENKUlvE_clEvENKUlvE_clEvEUldE_EEvS5_RKT_EUlibE_EEviT1_.has_indirect_call, 0
	.section	.AMDGPU.csdata,"",@progbits
; Kernel info:
; codeLenInByte = 49548
; TotalNumSgprs: 58
; NumVgprs: 86
; ScratchSize: 0
; MemoryBound: 0
; FloatMode: 240
; IeeeMode: 1
; LDSByteSize: 0 bytes/workgroup (compile time only)
; SGPRBlocks: 0
; VGPRBlocks: 10
; NumSGPRsForWavesPerEU: 58
; NumVGPRsForWavesPerEU: 86
; Occupancy: 10
; WaveLimiterHint : 1
; COMPUTE_PGM_RSRC2:SCRATCH_EN: 0
; COMPUTE_PGM_RSRC2:USER_SGPR: 6
; COMPUTE_PGM_RSRC2:TRAP_HANDLER: 0
; COMPUTE_PGM_RSRC2:TGID_X_EN: 1
; COMPUTE_PGM_RSRC2:TGID_Y_EN: 0
; COMPUTE_PGM_RSRC2:TGID_Z_EN: 0
; COMPUTE_PGM_RSRC2:TIDIG_COMP_CNT: 0
	.text
	.p2align	2                               ; -- Begin function _ZN2at6native6invokeIZZZNS0_12_GLOBAL__N_121bessel_y1_kernel_cudaERNS_18TensorIteratorBaseEENKUlvE_clEvENKUlvE_clEvEUldE_i15function_traitsIS7_EEENT1_11result_typeERKT_PrKPcPKT0_PKN3c1010ScalarTypeEi
	.type	_ZN2at6native6invokeIZZZNS0_12_GLOBAL__N_121bessel_y1_kernel_cudaERNS_18TensorIteratorBaseEENKUlvE_clEvENKUlvE_clEvEUldE_i15function_traitsIS7_EEENT1_11result_typeERKT_PrKPcPKT0_PKN3c1010ScalarTypeEi,@function
_ZN2at6native6invokeIZZZNS0_12_GLOBAL__N_121bessel_y1_kernel_cudaERNS_18TensorIteratorBaseEENKUlvE_clEvENKUlvE_clEvEUldE_i15function_traitsIS7_EEENT1_11result_typeERKT_PrKPcPKT0_PKN3c1010ScalarTypeEi: ; @_ZN2at6native6invokeIZZZNS0_12_GLOBAL__N_121bessel_y1_kernel_cudaERNS_18TensorIteratorBaseEENKUlvE_clEvENKUlvE_clEvEUldE_i15function_traitsIS7_EEENT1_11result_typeERKT_PrKPcPKT0_PKN3c1010ScalarTypeEi
; %bb.0:
	s_waitcnt vmcnt(0) expcnt(0) lgkmcnt(0)
	v_mul_lo_u32 v2, v4, v2
	v_mov_b32_e32 v5, 10
	s_mov_b32 s5, 0
	v_cmp_gt_i16_sdwa s4, v3, v5 src0_sel:BYTE_0 src1_sel:DWORD
	v_ashrrev_i32_e32 v4, 31, v2
	v_add_co_u32 v0, vcc_lo, v0, v2
	v_add_co_ci_u32_e64 v1, null, v1, v4, vcc_lo
                                        ; implicit-def: $vgpr4_vgpr5
	s_and_saveexec_b32 s6, s4
	s_xor_b32 s4, exec_lo, s6
	s_cbranch_execz .LBB8_51
; %bb.1:
	v_mov_b32_e32 v2, 25
	s_mov_b32 s8, 0
	s_mov_b32 s7, 0
                                        ; implicit-def: $vgpr4_vgpr5
	v_cmp_gt_i16_sdwa s6, v3, v2 src0_sel:BYTE_0 src1_sel:DWORD
	s_and_saveexec_b32 s9, s6
	s_xor_b32 s6, exec_lo, s9
	s_cbranch_execz .LBB8_94
; %bb.2:
	v_mov_b32_e32 v2, 28
	s_mov_b32 s9, 0
                                        ; implicit-def: $vgpr4_vgpr5
	v_cmp_gt_i16_sdwa s7, v3, v2 src0_sel:BYTE_0 src1_sel:DWORD
	s_and_saveexec_b32 s10, s7
	s_xor_b32 s7, exec_lo, s10
	s_cbranch_execz .LBB8_18
; %bb.3:
	v_mov_b32_e32 v2, 43
	s_mov_b32 s10, 0
	s_mov_b32 s11, 0
                                        ; implicit-def: $vgpr4_vgpr5
	v_cmp_gt_i16_sdwa s8, v3, v2 src0_sel:BYTE_0 src1_sel:DWORD
	s_and_saveexec_b32 s9, s8
	s_xor_b32 s8, exec_lo, s9
	s_cbranch_execz .LBB8_13
; %bb.4:
	v_mov_b32_e32 v2, 45
	s_mov_b32 s9, 0
                                        ; implicit-def: $vgpr4_vgpr5
	v_cmp_gt_i16_sdwa s11, v3, v2 src0_sel:BYTE_0 src1_sel:DWORD
	s_and_saveexec_b32 s12, s11
	s_xor_b32 s11, exec_lo, s12
	s_cbranch_execz .LBB8_8
; %bb.5:
	v_mov_b32_e32 v2, 46
	s_mov_b32 s12, -1
                                        ; implicit-def: $vgpr4_vgpr5
	v_cmp_eq_u16_sdwa s13, v3, v2 src0_sel:BYTE_0 src1_sel:DWORD
	s_and_saveexec_b32 s10, s13
	s_cbranch_execz .LBB8_7
; %bb.6:
	flat_load_dword v2, v[0:1]
	s_mov_b32 s9, exec_lo
	s_xor_b32 s12, exec_lo, -1
	s_waitcnt vmcnt(0) lgkmcnt(0)
	v_lshlrev_b32_e32 v2, 16, v2
	v_cvt_f64_f32_e32 v[4:5], v2
.LBB8_7:
	s_or_b32 exec_lo, exec_lo, s10
	s_and_b32 s10, s9, exec_lo
	s_and_b32 s9, s12, exec_lo
                                        ; implicit-def: $vgpr3
.LBB8_8:
	s_andn2_saveexec_b32 s11, s11
	s_cbranch_execz .LBB8_12
; %bb.9:
	v_mov_b32_e32 v2, 44
	s_mov_b32 s13, -1
	s_mov_b32 s14, s10
                                        ; implicit-def: $vgpr4_vgpr5
	v_cmp_eq_u16_sdwa s15, v3, v2 src0_sel:BYTE_0 src1_sel:DWORD
	s_and_saveexec_b32 s12, s15
	s_cbranch_execz .LBB8_11
; %bb.10:
	flat_load_ubyte v4, v[0:1]
	s_or_b32 s14, s10, exec_lo
	s_xor_b32 s13, exec_lo, -1
	s_waitcnt vmcnt(0) lgkmcnt(0)
	v_lshlrev_b32_e32 v2, 23, v4
	v_cmp_ne_u32_e32 vcc_lo, 0xff, v4
	v_cvt_f64_f32_e32 v[2:3], v2
	v_cndmask_b32_e32 v2, 0x20000000, v2, vcc_lo
	v_cndmask_b32_e32 v3, 0x7ff80000, v3, vcc_lo
	v_cmp_ne_u32_e32 vcc_lo, 0, v4
	v_cndmask_b32_e32 v5, 0x38000000, v3, vcc_lo
	v_cndmask_b32_e32 v4, 0, v2, vcc_lo
.LBB8_11:
	s_or_b32 exec_lo, exec_lo, s12
	s_andn2_b32 s10, s10, exec_lo
	s_and_b32 s12, s14, exec_lo
	s_andn2_b32 s9, s9, exec_lo
	s_and_b32 s13, s13, exec_lo
	s_or_b32 s10, s10, s12
	s_or_b32 s9, s9, s13
.LBB8_12:
	s_or_b32 exec_lo, exec_lo, s11
	s_and_b32 s11, s10, exec_lo
	s_and_b32 s10, s9, exec_lo
                                        ; implicit-def: $vgpr3
.LBB8_13:
	s_andn2_saveexec_b32 s8, s8
	s_cbranch_execz .LBB8_17
; %bb.14:
	v_mov_b32_e32 v2, 29
	s_mov_b32 s9, -1
	s_mov_b32 s12, s11
                                        ; implicit-def: $vgpr4_vgpr5
	v_cmp_eq_u16_sdwa s14, v3, v2 src0_sel:BYTE_0 src1_sel:DWORD
	s_and_saveexec_b32 s13, s14
	s_cbranch_execz .LBB8_16
; %bb.15:
	flat_load_dwordx2 v[2:3], v[0:1]
	s_or_b32 s12, s11, exec_lo
	s_xor_b32 s9, exec_lo, -1
	s_waitcnt vmcnt(0) lgkmcnt(0)
	v_cvt_f64_u32_e32 v[3:4], v3
	v_cvt_f64_u32_e32 v[5:6], v2
	v_ldexp_f64 v[3:4], v[3:4], 32
	v_add_f64 v[4:5], v[3:4], v[5:6]
.LBB8_16:
	s_or_b32 exec_lo, exec_lo, s13
	s_andn2_b32 s11, s11, exec_lo
	s_and_b32 s12, s12, exec_lo
	s_andn2_b32 s10, s10, exec_lo
	s_and_b32 s9, s9, exec_lo
	s_or_b32 s11, s11, s12
	s_or_b32 s10, s10, s9
.LBB8_17:
	s_or_b32 exec_lo, exec_lo, s8
	s_and_b32 s9, s11, exec_lo
	s_and_b32 s8, s10, exec_lo
                                        ; implicit-def: $vgpr3
.LBB8_18:
	s_andn2_saveexec_b32 s7, s7
	s_cbranch_execz .LBB8_36
; %bb.19:
	v_mov_b32_e32 v2, 26
                                        ; implicit-def: $vgpr4_vgpr5
	v_cmp_gt_i16_sdwa s10, v3, v2 src0_sel:BYTE_0 src1_sel:DWORD
	s_and_saveexec_b32 s11, s10
	s_xor_b32 s10, exec_lo, s11
	s_cbranch_execz .LBB8_25
; %bb.20:
	v_mov_b32_e32 v2, 27
                                        ; implicit-def: $vgpr4_vgpr5
	v_cmp_gt_i16_sdwa s11, v3, v2 src0_sel:BYTE_0 src1_sel:DWORD
	s_and_saveexec_b32 s12, s11
	s_xor_b32 s11, exec_lo, s12
	s_cbranch_execz .LBB8_22
; %bb.21:
	flat_load_dword v2, v[0:1]
	s_waitcnt vmcnt(0) lgkmcnt(0)
	v_cvt_f64_u32_e32 v[4:5], v2
.LBB8_22:
	s_andn2_saveexec_b32 s11, s11
	s_cbranch_execz .LBB8_24
; %bb.23:
	flat_load_ushort v2, v[0:1]
	s_waitcnt vmcnt(0) lgkmcnt(0)
	v_cvt_f64_u32_e32 v[4:5], v2
.LBB8_24:
	s_or_b32 exec_lo, exec_lo, s11
.LBB8_25:
	s_andn2_saveexec_b32 s10, s10
	s_cbranch_execz .LBB8_35
; %bb.26:
	flat_load_ubyte v2, v[0:1]
	s_mov_b32 s11, 0
	s_mov_b32 s12, exec_lo
	s_waitcnt vmcnt(0) lgkmcnt(0)
	v_cmpx_lt_i16_e32 0x7f, v2
	s_xor_b32 s12, exec_lo, s12
	s_cbranch_execz .LBB8_30
; %bb.27:
	s_mov_b32 s11, -1
	s_mov_b32 s13, exec_lo
	v_cmpx_eq_u16_e32 0x80, v2
; %bb.28:
	s_xor_b32 s11, exec_lo, -1
; %bb.29:
	s_or_b32 exec_lo, exec_lo, s13
	s_and_b32 s11, s11, exec_lo
.LBB8_30:
	s_or_saveexec_b32 s12, s12
	v_bfrev_b32_e32 v4, 4
	v_mov_b32_e32 v5, 0x7ff80000
	s_xor_b32 exec_lo, exec_lo, s12
; %bb.31:
	v_cmp_ne_u16_e32 vcc_lo, 0, v2
	v_mov_b32_e32 v4, 0
	v_mov_b32_e32 v5, 0
	s_andn2_b32 s11, s11, exec_lo
	s_and_b32 s13, vcc_lo, exec_lo
	s_or_b32 s11, s11, s13
; %bb.32:
	s_or_b32 exec_lo, exec_lo, s12
	s_and_saveexec_b32 s12, s11
	s_cbranch_execz .LBB8_34
; %bb.33:
	v_and_b32_e32 v3, 0xffff, v2
	v_lshlrev_b32_e32 v2, 24, v2
	v_and_b32_e32 v4, 7, v3
	v_bfe_u32 v7, v3, 3, 4
	v_and_b32_e32 v2, 0x80000000, v2
	v_ffbh_u32_e32 v5, v4
	v_cmp_eq_u32_e32 vcc_lo, 0, v7
	v_min_u32_e32 v5, 32, v5
	v_subrev_nc_u32_e32 v6, 28, v5
	v_sub_nc_u32_e32 v5, 29, v5
	v_lshlrev_b32_e32 v3, v6, v3
	v_cndmask_b32_e32 v5, v7, v5, vcc_lo
	v_and_b32_e32 v3, 7, v3
	v_cndmask_b32_e32 v3, v4, v3, vcc_lo
	v_lshl_add_u32 v4, v5, 23, 0x3b800000
	v_lshlrev_b32_e32 v3, 20, v3
	v_or3_b32 v2, v2, v4, v3
	v_cvt_f64_f32_e32 v[4:5], v2
.LBB8_34:
	s_or_b32 exec_lo, exec_lo, s12
.LBB8_35:
	s_or_b32 exec_lo, exec_lo, s10
	s_or_b32 s9, s9, exec_lo
.LBB8_36:
	s_or_b32 exec_lo, exec_lo, s7
	s_and_b32 s7, s9, exec_lo
	s_and_b32 s8, s8, exec_lo
                                        ; implicit-def: $vgpr3
	s_andn2_saveexec_b32 s6, s6
	s_cbranch_execnz .LBB8_95
.LBB8_37:
	s_or_b32 exec_lo, exec_lo, s6
	s_and_saveexec_b32 s6, s8
	s_cbranch_execnz .LBB8_122
.LBB8_38:
	s_or_b32 exec_lo, exec_lo, s6
	s_and_saveexec_b32 s6, s5
	s_xor_b32 s5, exec_lo, s6
	s_cbranch_execz .LBB8_40
.LBB8_39:
	flat_load_ubyte v0, v[0:1]
	v_mov_b32_e32 v4, 0
	s_or_b32 s7, s7, exec_lo
	s_waitcnt vmcnt(0) lgkmcnt(0)
	v_cmp_ne_u16_e32 vcc_lo, 0, v0
	v_cndmask_b32_e64 v5, 0, 0x3ff00000, vcc_lo
.LBB8_40:
	s_or_b32 exec_lo, exec_lo, s5
	s_and_b32 s5, s7, exec_lo
                                        ; implicit-def: $vgpr3
                                        ; implicit-def: $vgpr0_vgpr1
	s_andn2_saveexec_b32 s4, s4
	s_cbranch_execnz .LBB8_52
.LBB8_41:
	s_or_b32 exec_lo, exec_lo, s4
                                        ; implicit-def: $vgpr0_vgpr1
	s_and_saveexec_b32 s16, s5
	s_cbranch_execz .LBB8_93
.LBB8_42:
                                        ; implicit-def: $vgpr0_vgpr1
	s_mov_b32 s4, exec_lo
	s_waitcnt vmcnt(0) lgkmcnt(0)
	v_cmpx_ge_f64_e32 0x40140000, v[4:5]
	s_xor_b32 s6, exec_lo, s4
	s_cbranch_execz .LBB8_48
; %bb.43:
	v_mov_b32_e32 v0, 0
	v_mov_b32_e32 v1, 0xfff00000
	s_mov_b32 s7, exec_lo
	v_cmpx_neq_f64_e32 0, v[4:5]
	s_cbranch_execz .LBB8_47
; %bb.44:
	v_mov_b32_e32 v0, 0
	v_mov_b32_e32 v1, 0x7ff80000
	s_mov_b32 s8, exec_lo
	v_cmpx_nge_f64_e32 0, v[4:5]
	s_cbranch_execz .LBB8_46
; %bb.45:
	v_frexp_mant_f64_e32 v[0:1], v[4:5]
	s_mov_b32 s5, 0x3fe55555
	s_mov_b32 s4, 0x55555555
	;; [unrolled: 1-line block ×8, first 2 shown]
	v_frexp_exp_i32_f64_e32 v24, v[4:5]
	s_mov_b32 s18, 0xfefa39ef
	s_mov_b32 s19, 0x3fe62e42
	v_cmp_gt_f64_e32 vcc_lo, s[4:5], v[0:1]
	s_mov_b32 s4, 0x55555780
	v_cndmask_b32_e64 v2, 0, 1, vcc_lo
	v_ldexp_f64 v[0:1], v[0:1], v2
	v_add_f64 v[2:3], v[0:1], 1.0
	v_add_f64 v[10:11], v[0:1], -1.0
	v_rcp_f64_e32 v[6:7], v[2:3]
	v_add_f64 v[12:13], v[2:3], -1.0
	v_add_f64 v[0:1], v[0:1], -v[12:13]
	v_fma_f64 v[8:9], -v[2:3], v[6:7], 1.0
	v_fma_f64 v[6:7], v[8:9], v[6:7], v[6:7]
	v_fma_f64 v[8:9], -v[2:3], v[6:7], 1.0
	v_fma_f64 v[6:7], v[8:9], v[6:7], v[6:7]
	v_mul_f64 v[8:9], v[10:11], v[6:7]
	v_mul_f64 v[14:15], v[2:3], v[8:9]
	v_fma_f64 v[2:3], v[8:9], v[2:3], -v[14:15]
	v_fma_f64 v[0:1], v[8:9], v[0:1], v[2:3]
	v_add_f64 v[2:3], v[14:15], v[0:1]
	v_add_f64 v[12:13], v[10:11], -v[2:3]
	v_add_f64 v[14:15], v[2:3], -v[14:15]
	;; [unrolled: 1-line block ×5, first 2 shown]
	v_add_f64 v[0:1], v[0:1], v[2:3]
	v_add_f64 v[0:1], v[12:13], v[0:1]
	v_mul_f64 v[12:13], v[4:5], v[4:5]
	v_mul_f64 v[0:1], v[6:7], v[0:1]
	v_add_f64 v[2:3], v[8:9], v[0:1]
	v_mul_f64 v[6:7], v[2:3], v[2:3]
	v_ldexp_f64 v[22:23], v[2:3], 1
	v_fma_f64 v[10:11], v[6:7], s[12:13], s[10:11]
	s_mov_b32 s10, 0xd7f4df2e
	s_mov_b32 s11, 0x3fc7474d
	;; [unrolled: 1-line block ×4, first 2 shown]
	v_mul_f64 v[20:21], v[2:3], v[6:7]
	v_fma_f64 v[16:17], v[12:13], 0, s[12:13]
	s_mov_b32 s12, 0xdd701b2
	s_mov_b32 s13, 0x410f5eda
	v_add_f64 v[2:3], v[2:3], -v[8:9]
	v_fma_f64 v[10:11], v[6:7], v[10:11], s[10:11]
	s_mov_b32 s10, 0xa93f7ac2
	s_mov_b32 s11, 0x40829269
	v_fma_f64 v[14:15], v[12:13], 0, s[10:11]
	s_mov_b32 s10, 0x16291751
	s_mov_b32 s11, 0x3fcc71c0
	;; [unrolled: 3-line block ×3, first 2 shown]
	v_add_f64 v[0:1], v[0:1], -v[2:3]
	v_fma_f64 v[10:11], v[6:7], v[10:11], s[10:11]
	s_mov_b32 s10, 0xbe58ef7f
	s_mov_b32 s11, 0x410cc160
	v_fma_f64 v[14:15], v[12:13], v[14:15], s[10:11]
	s_mov_b32 s10, 0x9b27acf1
	s_mov_b32 s11, 0x3fd24924
	;; [unrolled: 3-line block ×3, first 2 shown]
	v_ldexp_f64 v[0:1], v[0:1], 1
	v_fma_f64 v[10:11], v[6:7], v[10:11], s[10:11]
	s_mov_b32 s10, 0x62f9b6c5
	s_mov_b32 s11, 0x41d2d2be
	v_fma_f64 v[18:19], v[12:13], 0, s[10:11]
	v_fma_f64 v[14:15], v[12:13], v[14:15], s[12:13]
	s_mov_b32 s10, 0x998ef7b6
	s_mov_b32 s11, 0x3fd99999
	;; [unrolled: 1-line block ×4, first 2 shown]
	v_fma_f64 v[16:17], v[12:13], v[16:17], s[14:15]
	s_mov_b32 s14, 0x8076ffa8
	s_mov_b32 s15, 0x429146fb
	v_fma_f64 v[10:11], v[6:7], v[10:11], s[10:11]
	s_mov_b32 s10, 0x58836521
	s_mov_b32 s11, 0xc262d72d
	v_fma_f64 v[18:19], v[12:13], v[18:19], s[10:11]
	v_fma_f64 v[14:15], v[12:13], v[14:15], s[12:13]
	s_mov_b32 s10, 0xfda99316
	s_mov_b32 s12, 0x4cda4fc5
	;; [unrolled: 1-line block ×4, first 2 shown]
	v_fma_f64 v[16:17], v[12:13], v[16:17], s[14:15]
	s_mov_b32 s14, 0x3eccf45f
	s_mov_b32 s15, 0x43064b0a
	v_fma_f64 v[6:7], v[6:7], v[10:11], s[4:5]
	s_mov_b32 s4, 0xb0910fef
	s_mov_b32 s5, 0x42da0954
	v_fma_f64 v[10:11], v[12:13], v[18:19], s[4:5]
	v_fma_f64 v[14:15], v[12:13], v[14:15], s[10:11]
	;; [unrolled: 1-line block ×3, first 2 shown]
	s_mov_b32 s4, 0x37a1b083
	s_mov_b32 s10, 0xd71d1e4e
	;; [unrolled: 1-line block ×6, first 2 shown]
	v_fma_f64 v[16:17], v[12:13], v[16:17], s[14:15]
	s_mov_b32 s14, 0xf4653f81
	s_mov_b32 s15, 0x4373e0bf
	v_mul_f64 v[6:7], v[20:21], v[6:7]
	v_subrev_co_ci_u32_e64 v20, null, 0, v24, vcc_lo
	v_fma_f64 v[10:11], v[12:13], v[10:11], s[4:5]
	v_fma_f64 v[14:15], v[12:13], v[14:15], s[10:11]
	;; [unrolled: 1-line block ×3, first 2 shown]
	v_cvt_f64_i32_e32 v[20:21], v20
	s_mov_b32 s4, 0xb7366b1
	s_mov_b32 s10, 0xc547a488
	;; [unrolled: 1-line block ×6, first 2 shown]
	v_fma_f64 v[16:17], v[12:13], v[16:17], s[14:15]
	s_mov_b32 s14, 0xa697c482
	s_mov_b32 s15, 0x432a2b42
	v_add_f64 v[8:9], v[22:23], v[6:7]
	v_fma_f64 v[10:11], v[12:13], v[10:11], s[4:5]
	v_fma_f64 v[14:15], v[12:13], v[14:15], s[10:11]
	;; [unrolled: 1-line block ×3, first 2 shown]
	v_mul_f64 v[24:25], v[20:21], s[18:19]
	s_mov_b32 s4, 0x90f6747f
	s_mov_b32 s10, 0x5dde2b17
	;; [unrolled: 1-line block ×6, first 2 shown]
	v_add_f64 v[2:3], v[8:9], -v[22:23]
	v_fma_f64 v[10:11], v[12:13], v[10:11], s[10:11]
	v_fma_f64 v[14:15], v[12:13], v[14:15], s[4:5]
	;; [unrolled: 1-line block ×4, first 2 shown]
	v_fma_f64 v[16:17], v[20:21], s[18:19], -v[24:25]
	s_mov_b32 s4, 0x3b39803f
	s_mov_b32 s5, 0x3c7abc9e
	v_add_f64 v[2:3], v[6:7], -v[2:3]
	v_div_scale_f64 v[6:7], null, v[14:15], v[14:15], v[10:11]
	v_div_scale_f64 v[22:23], null, v[12:13], v[12:13], v[18:19]
	v_fma_f64 v[16:17], v[20:21], s[4:5], v[16:17]
	v_add_f64 v[0:1], v[0:1], v[2:3]
	v_rcp_f64_e32 v[2:3], v[6:7]
	v_rcp_f64_e32 v[20:21], v[22:23]
	v_add_f64 v[26:27], v[24:25], v[16:17]
	v_add_f64 v[28:29], v[8:9], v[0:1]
	v_fma_f64 v[30:31], -v[6:7], v[2:3], 1.0
	v_fma_f64 v[32:33], -v[22:23], v[20:21], 1.0
	v_add_f64 v[24:25], v[26:27], -v[24:25]
	v_add_f64 v[34:35], v[26:27], v[28:29]
	v_add_f64 v[8:9], v[28:29], -v[8:9]
	v_fma_f64 v[2:3], v[2:3], v[30:31], v[2:3]
	v_fma_f64 v[20:21], v[20:21], v[32:33], v[20:21]
	v_div_scale_f64 v[32:33], null, v[4:5], v[4:5], -1.0
	v_add_f64 v[16:17], v[16:17], -v[24:25]
	v_div_scale_f64 v[24:25], vcc_lo, v[10:11], v[14:15], v[10:11]
	v_add_f64 v[30:31], v[34:35], -v[26:27]
	v_add_f64 v[0:1], v[0:1], -v[8:9]
	v_fma_f64 v[36:37], -v[6:7], v[2:3], 1.0
	v_fma_f64 v[38:39], -v[22:23], v[20:21], 1.0
	v_rcp_f64_e32 v[50:51], v[32:33]
	v_add_f64 v[48:49], v[34:35], -v[30:31]
	v_add_f64 v[8:9], v[28:29], -v[30:31]
	v_fma_f64 v[2:3], v[2:3], v[36:37], v[2:3]
	v_div_scale_f64 v[36:37], s4, v[18:19], v[12:13], v[18:19]
	v_fma_f64 v[20:21], v[20:21], v[38:39], v[20:21]
	v_fma_f64 v[28:29], -v[32:33], v[50:51], 1.0
	v_add_f64 v[26:27], v[26:27], -v[48:49]
	v_add_f64 v[48:49], v[16:17], v[0:1]
	v_mul_f64 v[30:31], v[24:25], v[2:3]
	v_mul_f64 v[38:39], v[36:37], v[20:21]
	v_add_f64 v[8:9], v[8:9], v[26:27]
	v_fma_f64 v[26:27], v[50:51], v[28:29], v[50:51]
	v_fma_f64 v[6:7], -v[6:7], v[30:31], v[24:25]
	v_add_f64 v[24:25], v[48:49], -v[16:17]
	v_fma_f64 v[22:23], -v[22:23], v[38:39], v[36:37]
	v_add_f64 v[8:9], v[48:49], v[8:9]
	v_fma_f64 v[28:29], -v[32:33], v[26:27], 1.0
	v_div_fmas_f64 v[2:3], v[6:7], v[2:3], v[30:31]
	s_mov_b32 vcc_lo, s4
	v_add_f64 v[0:1], v[0:1], -v[24:25]
	v_div_fmas_f64 v[6:7], v[22:23], v[20:21], v[38:39]
	v_add_f64 v[20:21], v[48:49], -v[24:25]
	v_div_scale_f64 v[30:31], vcc_lo, -1.0, v[4:5], -1.0
	s_mov_b32 s4, 0x4189822c
	s_mov_b32 s5, 0xc02d5d2b
	v_add_f64 v[22:23], v[34:35], v[8:9]
	v_fma_f64 v[26:27], v[26:27], v[28:29], v[26:27]
	v_div_fixup_f64 v[2:3], v[2:3], v[14:15], v[10:11]
	v_div_fixup_f64 v[6:7], v[6:7], v[12:13], v[18:19]
	v_add_f64 v[12:13], v[16:17], -v[20:21]
	v_fma_f64 v[20:21], v[4:5], v[4:5], s[4:5]
	s_mov_b32 s4, 0x6072a432
	s_mov_b32 s5, 0xc0489bf6
	v_add_f64 v[16:17], v[22:23], -v[34:35]
	v_mul_f64 v[18:19], v[30:31], v[26:27]
	v_mul_f64 v[6:7], v[4:5], v[6:7]
	v_add_f64 v[0:1], v[0:1], v[12:13]
	v_add_f64 v[8:9], v[8:9], -v[16:17]
	v_fma_f64 v[12:13], -v[32:33], v[18:19], v[30:31]
	v_fma_f64 v[16:17], v[4:5], v[4:5], s[4:5]
	s_mov_b32 s4, 0x6dc9c883
	s_mov_b32 s5, 0x3fe45f30
	v_mul_f64 v[6:7], v[20:21], v[6:7]
	v_add_f64 v[0:1], v[0:1], v[8:9]
	v_div_fmas_f64 v[8:9], v[12:13], v[26:27], v[18:19]
	v_mul_f64 v[6:7], v[16:17], v[6:7]
	v_add_f64 v[0:1], v[22:23], v[0:1]
	v_div_fixup_f64 v[8:9], v[8:9], v[4:5], -1.0
	v_fma_f64 v[0:1], v[6:7], v[0:1], v[8:9]
	v_mul_f64 v[0:1], v[0:1], s[4:5]
	v_fma_f64 v[0:1], v[4:5], v[2:3], v[0:1]
.LBB8_46:
	s_or_b32 exec_lo, exec_lo, s8
.LBB8_47:
	s_or_b32 exec_lo, exec_lo, s7
                                        ; implicit-def: $vgpr4_vgpr5
.LBB8_48:
	s_andn2_saveexec_b32 s17, s6
	s_cbranch_execz .LBB8_130
; %bb.49:
	s_mov_b32 s4, 0x7f3321d2
	s_mov_b32 s5, 0xc002d97c
                                        ; implicit-def: $vgpr20
                                        ; implicit-def: $vgpr2_vgpr3
                                        ; implicit-def: $vgpr6_vgpr7
	v_add_f64 v[0:1], v[4:5], s[4:5]
	v_cmp_ngt_f64_e64 s4, 0x41d00000, |v[0:1]|
	v_trig_preop_f64 v[16:17], |v[0:1]|, 0
	v_trig_preop_f64 v[14:15], |v[0:1]|, 1
	v_ldexp_f64 v[18:19], |v[0:1]|, 0xffffff80
	v_trig_preop_f64 v[12:13], |v[0:1]|, 2
	v_and_b32_e32 v22, 0x7fffffff, v1
	s_and_saveexec_b32 s5, s4
	s_xor_b32 s5, exec_lo, s5
	s_cbranch_execz .LBB8_123
; %bb.50:
	v_cmp_le_f64_e64 vcc_lo, 0x7b000000, |v[0:1]|
	v_mov_b32_e32 v33, 0
	s_mov_b32 s6, 0x54442d18
	s_mov_b32 s7, 0x3ff921fb
	;; [unrolled: 1-line block ×4, first 2 shown]
	v_cndmask_b32_e32 v3, v22, v19, vcc_lo
	v_cndmask_b32_e32 v2, v0, v18, vcc_lo
	v_mul_f64 v[6:7], v[16:17], v[2:3]
	v_mul_f64 v[8:9], v[14:15], v[2:3]
	;; [unrolled: 1-line block ×3, first 2 shown]
	v_fma_f64 v[10:11], v[16:17], v[2:3], -v[6:7]
	v_fma_f64 v[31:32], v[14:15], v[2:3], -v[8:9]
	v_fma_f64 v[2:3], v[12:13], v[2:3], -v[29:30]
	v_add_f64 v[20:21], v[8:9], v[10:11]
	v_add_f64 v[23:24], v[20:21], -v[8:9]
	v_add_f64 v[27:28], v[6:7], v[20:21]
	v_add_f64 v[25:26], v[20:21], -v[23:24]
	v_add_f64 v[10:11], v[10:11], -v[23:24]
	v_ldexp_f64 v[23:24], v[27:28], -2
	v_add_f64 v[6:7], v[27:28], -v[6:7]
	v_add_f64 v[8:9], v[8:9], -v[25:26]
	v_add_f64 v[25:26], v[29:30], v[31:32]
	v_cmp_neq_f64_e64 vcc_lo, 0x7ff00000, |v[23:24]|
	v_add_f64 v[6:7], v[20:21], -v[6:7]
	v_add_f64 v[8:9], v[10:11], v[8:9]
	v_fract_f64_e32 v[10:11], v[23:24]
	v_add_f64 v[20:21], v[25:26], v[8:9]
	v_ldexp_f64 v[10:11], v[10:11], 2
	v_add_f64 v[23:24], v[6:7], v[20:21]
	v_cndmask_b32_e32 v11, 0, v11, vcc_lo
	v_cndmask_b32_e32 v10, 0, v10, vcc_lo
	v_add_f64 v[27:28], v[23:24], v[10:11]
	v_add_f64 v[6:7], v[23:24], -v[6:7]
	v_cmp_gt_f64_e32 vcc_lo, 0, v[27:28]
	v_add_f64 v[27:28], v[25:26], -v[29:30]
	v_add_f64 v[6:7], v[20:21], -v[6:7]
	v_cndmask_b32_e64 v34, 0, 0x40100000, vcc_lo
	v_add_f64 v[38:39], v[25:26], -v[27:28]
	v_add_f64 v[27:28], v[31:32], -v[27:28]
	v_add_f64 v[10:11], v[10:11], v[33:34]
	v_add_f64 v[34:35], v[20:21], -v[25:26]
	v_add_f64 v[31:32], v[29:30], -v[38:39]
	v_add_f64 v[36:37], v[23:24], v[10:11]
	;; [unrolled: 3-line block ×3, first 2 shown]
	v_cvt_i32_f64_e32 v36, v[36:37]
	v_add_f64 v[25:26], v[25:26], -v[48:49]
	v_cvt_f64_i32_e32 v[34:35], v36
	v_add_f64 v[8:9], v[8:9], v[25:26]
	v_add_f64 v[10:11], v[10:11], -v[34:35]
	v_add_f64 v[8:9], v[27:28], v[8:9]
	v_add_f64 v[25:26], v[23:24], v[10:11]
	;; [unrolled: 1-line block ×3, first 2 shown]
	v_add_f64 v[8:9], v[25:26], -v[10:11]
	v_cmp_le_f64_e32 vcc_lo, 0.5, v[25:26]
	v_add_f64 v[2:3], v[6:7], v[2:3]
	v_add_f64 v[6:7], v[23:24], -v[8:9]
	v_cndmask_b32_e64 v34, 0, 0x3ff00000, vcc_lo
	v_add_co_ci_u32_e64 v20, null, 0, v36, vcc_lo
	v_add_f64 v[2:3], v[2:3], v[6:7]
	v_add_f64 v[6:7], v[25:26], -v[33:34]
	v_add_f64 v[8:9], v[6:7], v[2:3]
	v_mul_f64 v[10:11], v[8:9], s[6:7]
	v_add_f64 v[6:7], v[8:9], -v[6:7]
	v_fma_f64 v[23:24], v[8:9], s[6:7], -v[10:11]
	v_add_f64 v[2:3], v[2:3], -v[6:7]
	v_fma_f64 v[6:7], v[8:9], s[8:9], v[23:24]
	v_fma_f64 v[6:7], v[2:3], s[6:7], v[6:7]
	v_add_f64 v[2:3], v[10:11], v[6:7]
	v_add_f64 v[8:9], v[2:3], -v[10:11]
	v_add_f64 v[6:7], v[6:7], -v[8:9]
	s_andn2_saveexec_b32 s5, s5
	s_cbranch_execz .LBB8_125
	s_branch .LBB8_124
.LBB8_51:
	s_andn2_saveexec_b32 s4, s4
	s_cbranch_execz .LBB8_41
.LBB8_52:
	v_mov_b32_e32 v2, 4
                                        ; implicit-def: $vgpr4_vgpr5
	v_cmp_gt_i16_sdwa s6, v3, v2 src0_sel:BYTE_0 src1_sel:DWORD
	s_and_saveexec_b32 s7, s6
	s_xor_b32 s6, exec_lo, s7
	s_cbranch_execz .LBB8_74
; %bb.53:
	v_mov_b32_e32 v2, 7
                                        ; implicit-def: $vgpr4_vgpr5
	v_cmp_gt_i16_sdwa s7, v3, v2 src0_sel:BYTE_0 src1_sel:DWORD
	s_and_saveexec_b32 s8, s7
	s_xor_b32 s7, exec_lo, s8
	s_cbranch_execz .LBB8_63
; %bb.54:
	;; [unrolled: 7-line block ×4, first 2 shown]
	flat_load_dwordx2 v[4:5], v[0:1]
                                        ; implicit-def: $vgpr0_vgpr1
.LBB8_57:
	s_andn2_saveexec_b32 s9, s9
	s_cbranch_execz .LBB8_59
; %bb.58:
	flat_load_dword v0, v[0:1]
	s_waitcnt vmcnt(0) lgkmcnt(0)
	v_cvt_f64_f32_e32 v[4:5], v0
.LBB8_59:
	s_or_b32 exec_lo, exec_lo, s9
                                        ; implicit-def: $vgpr0_vgpr1
.LBB8_60:
	s_andn2_saveexec_b32 s8, s8
	s_cbranch_execz .LBB8_62
; %bb.61:
	flat_load_dword v0, v[0:1]
	s_waitcnt vmcnt(0) lgkmcnt(0)
	v_cvt_f32_f16_e32 v0, v0
	v_cvt_f64_f32_e32 v[4:5], v0
.LBB8_62:
	s_or_b32 exec_lo, exec_lo, s8
                                        ; implicit-def: $vgpr0_vgpr1
                                        ; implicit-def: $vgpr3
.LBB8_63:
	s_andn2_saveexec_b32 s7, s7
	s_cbranch_execz .LBB8_73
; %bb.64:
	v_mov_b32_e32 v2, 5
                                        ; implicit-def: $vgpr4_vgpr5
	v_cmp_gt_i16_sdwa s8, v3, v2 src0_sel:BYTE_0 src1_sel:DWORD
	s_and_saveexec_b32 s9, s8
	s_xor_b32 s8, exec_lo, s9
	s_cbranch_execz .LBB8_70
; %bb.65:
	v_mov_b32_e32 v2, 6
                                        ; implicit-def: $vgpr4_vgpr5
	v_cmp_gt_i16_sdwa s9, v3, v2 src0_sel:BYTE_0 src1_sel:DWORD
	s_and_saveexec_b32 s10, s9
	s_xor_b32 s9, exec_lo, s10
	s_cbranch_execz .LBB8_67
; %bb.66:
	s_waitcnt vmcnt(0) lgkmcnt(0)
	flat_load_dwordx2 v[4:5], v[0:1]
                                        ; implicit-def: $vgpr0_vgpr1
.LBB8_67:
	s_andn2_saveexec_b32 s9, s9
	s_cbranch_execz .LBB8_69
; %bb.68:
	flat_load_dword v0, v[0:1]
	s_waitcnt vmcnt(0) lgkmcnt(0)
	v_cvt_f64_f32_e32 v[4:5], v0
.LBB8_69:
	s_or_b32 exec_lo, exec_lo, s9
                                        ; implicit-def: $vgpr0_vgpr1
.LBB8_70:
	s_andn2_saveexec_b32 s8, s8
	s_cbranch_execz .LBB8_72
; %bb.71:
	flat_load_ushort v0, v[0:1]
	s_waitcnt vmcnt(0) lgkmcnt(0)
	v_cvt_f32_f16_e32 v0, v0
	v_cvt_f64_f32_e32 v[4:5], v0
.LBB8_72:
	s_or_b32 exec_lo, exec_lo, s8
.LBB8_73:
	s_or_b32 exec_lo, exec_lo, s7
                                        ; implicit-def: $vgpr3
                                        ; implicit-def: $vgpr0_vgpr1
.LBB8_74:
	s_andn2_saveexec_b32 s6, s6
	s_cbranch_execz .LBB8_92
; %bb.75:
	v_mov_b32_e32 v2, 1
                                        ; implicit-def: $vgpr4_vgpr5
	v_cmp_gt_i16_sdwa s7, v3, v2 src0_sel:BYTE_0 src1_sel:DWORD
	s_and_saveexec_b32 s8, s7
	s_xor_b32 s7, exec_lo, s8
	s_cbranch_execz .LBB8_85
; %bb.76:
	v_mov_b32_e32 v2, 2
                                        ; implicit-def: $vgpr4_vgpr5
	v_cmp_gt_i16_sdwa s8, v3, v2 src0_sel:BYTE_0 src1_sel:DWORD
	s_and_saveexec_b32 s9, s8
	s_xor_b32 s8, exec_lo, s9
	;; [unrolled: 7-line block ×3, first 2 shown]
	s_cbranch_execz .LBB8_79
; %bb.78:
	flat_load_dwordx2 v[0:1], v[0:1]
	s_waitcnt vmcnt(0) lgkmcnt(0)
	v_cvt_f64_i32_e32 v[1:2], v1
	v_cvt_f64_u32_e32 v[3:4], v0
	v_ldexp_f64 v[1:2], v[1:2], 32
	v_add_f64 v[4:5], v[1:2], v[3:4]
                                        ; implicit-def: $vgpr0_vgpr1
.LBB8_79:
	s_andn2_saveexec_b32 s9, s9
	s_cbranch_execz .LBB8_81
; %bb.80:
	flat_load_dword v0, v[0:1]
	s_waitcnt vmcnt(0) lgkmcnt(0)
	v_cvt_f64_i32_e32 v[4:5], v0
.LBB8_81:
	s_or_b32 exec_lo, exec_lo, s9
                                        ; implicit-def: $vgpr0_vgpr1
.LBB8_82:
	s_andn2_saveexec_b32 s8, s8
	s_cbranch_execz .LBB8_84
; %bb.83:
	flat_load_sshort v0, v[0:1]
	s_waitcnt vmcnt(0) lgkmcnt(0)
	v_cvt_f64_i32_e32 v[4:5], v0
.LBB8_84:
	s_or_b32 exec_lo, exec_lo, s8
                                        ; implicit-def: $vgpr0_vgpr1
                                        ; implicit-def: $vgpr3
.LBB8_85:
	s_andn2_saveexec_b32 s7, s7
	s_cbranch_execz .LBB8_91
; %bb.86:
	v_mov_b32_e32 v2, 0
                                        ; implicit-def: $vgpr4_vgpr5
	v_cmp_gt_i16_sdwa s8, v3, v2 src0_sel:BYTE_0 src1_sel:DWORD
	s_and_saveexec_b32 s9, s8
	s_xor_b32 s8, exec_lo, s9
	s_cbranch_execz .LBB8_88
; %bb.87:
	flat_load_sbyte v0, v[0:1]
	s_waitcnt vmcnt(0) lgkmcnt(0)
	v_cvt_f64_i32_e32 v[4:5], v0
                                        ; implicit-def: $vgpr0_vgpr1
.LBB8_88:
	s_andn2_saveexec_b32 s8, s8
	s_cbranch_execz .LBB8_90
; %bb.89:
	flat_load_ubyte v0, v[0:1]
	s_waitcnt vmcnt(0) lgkmcnt(0)
	v_cvt_f64_u32_e32 v[4:5], v0
.LBB8_90:
	s_or_b32 exec_lo, exec_lo, s8
.LBB8_91:
	s_or_b32 exec_lo, exec_lo, s7
.LBB8_92:
	s_or_b32 exec_lo, exec_lo, s6
	s_or_b32 s5, s5, exec_lo
	s_or_b32 exec_lo, exec_lo, s4
                                        ; implicit-def: $vgpr0_vgpr1
	s_and_saveexec_b32 s16, s5
	s_cbranch_execnz .LBB8_42
.LBB8_93:
	s_or_b32 exec_lo, exec_lo, s16
	s_waitcnt vmcnt(0) lgkmcnt(0)
	s_setpc_b64 s[30:31]
.LBB8_94:
	s_andn2_saveexec_b32 s6, s6
	s_cbranch_execz .LBB8_37
.LBB8_95:
	v_mov_b32_e32 v2, 22
	s_mov_b32 s9, s7
                                        ; implicit-def: $vgpr4_vgpr5
	v_cmp_gt_i16_sdwa s5, v3, v2 src0_sel:BYTE_0 src1_sel:DWORD
	s_and_saveexec_b32 s10, s5
	s_xor_b32 s5, exec_lo, s10
	s_cbranch_execz .LBB8_113
; %bb.96:
	v_mov_b32_e32 v2, 23
                                        ; implicit-def: $vgpr4_vgpr5
	v_cmp_gt_i16_sdwa s9, v3, v2 src0_sel:BYTE_0 src1_sel:DWORD
	s_and_saveexec_b32 s10, s9
	s_xor_b32 s9, exec_lo, s10
	s_cbranch_execz .LBB8_110
; %bb.97:
	v_mov_b32_e32 v2, 24
                                        ; implicit-def: $vgpr4_vgpr5
	v_cmp_gt_i16_sdwa s10, v3, v2 src0_sel:BYTE_0 src1_sel:DWORD
	s_and_saveexec_b32 s11, s10
	s_xor_b32 s10, exec_lo, s11
	s_cbranch_execz .LBB8_107
; %bb.98:
	flat_load_ubyte v2, v[0:1]
	s_mov_b32 s11, 0
	s_mov_b32 s12, exec_lo
	s_waitcnt vmcnt(0) lgkmcnt(0)
	v_cmpx_lt_i16_e32 0x7f, v2
	s_xor_b32 s12, exec_lo, s12
	s_cbranch_execz .LBB8_102
; %bb.99:
	s_mov_b32 s11, -1
	s_mov_b32 s13, exec_lo
	v_cmpx_eq_u16_e32 0x80, v2
; %bb.100:
	s_xor_b32 s11, exec_lo, -1
; %bb.101:
	s_or_b32 exec_lo, exec_lo, s13
	s_and_b32 s11, s11, exec_lo
.LBB8_102:
	s_or_saveexec_b32 s12, s12
	v_bfrev_b32_e32 v4, 4
	v_mov_b32_e32 v5, 0x7ff80000
	s_xor_b32 exec_lo, exec_lo, s12
; %bb.103:
	v_cmp_ne_u16_e32 vcc_lo, 0, v2
	v_mov_b32_e32 v4, 0
	v_mov_b32_e32 v5, 0
	s_andn2_b32 s11, s11, exec_lo
	s_and_b32 s13, vcc_lo, exec_lo
	s_or_b32 s11, s11, s13
; %bb.104:
	s_or_b32 exec_lo, exec_lo, s12
	s_and_saveexec_b32 s12, s11
	s_cbranch_execz .LBB8_106
; %bb.105:
	v_and_b32_e32 v3, 0xffff, v2
	v_lshlrev_b32_e32 v2, 24, v2
	v_and_b32_e32 v4, 3, v3
	v_bfe_u32 v7, v3, 2, 5
	v_and_b32_e32 v2, 0x80000000, v2
	v_ffbh_u32_e32 v5, v4
	v_cmp_eq_u32_e32 vcc_lo, 0, v7
	v_min_u32_e32 v5, 32, v5
	v_subrev_nc_u32_e32 v6, 29, v5
	v_sub_nc_u32_e32 v5, 30, v5
	v_lshlrev_b32_e32 v3, v6, v3
	v_cndmask_b32_e32 v5, v7, v5, vcc_lo
	v_and_b32_e32 v3, 3, v3
	v_cndmask_b32_e32 v3, v4, v3, vcc_lo
	v_lshl_add_u32 v4, v5, 23, 0x37800000
	v_lshlrev_b32_e32 v3, 21, v3
	v_or3_b32 v2, v2, v4, v3
	v_cvt_f64_f32_e32 v[4:5], v2
.LBB8_106:
	s_or_b32 exec_lo, exec_lo, s12
.LBB8_107:
	s_andn2_saveexec_b32 s10, s10
	s_cbranch_execz .LBB8_109
; %bb.108:
	flat_load_ubyte v2, v[0:1]
	s_waitcnt vmcnt(0) lgkmcnt(0)
	v_lshlrev_b32_e32 v2, 24, v2
	v_and_b32_e32 v3, 0x7f000000, v2
	v_ffbh_u32_e32 v4, v3
	v_add_nc_u32_e32 v6, 0x1000000, v3
	v_cmp_ne_u32_e32 vcc_lo, 0, v3
	v_min_u32_e32 v4, 32, v4
	v_sub_nc_u32_e64 v4, v4, 4 clamp
	v_lshlrev_b32_e32 v5, v4, v3
	v_lshlrev_b32_e32 v4, 23, v4
	v_lshrrev_b32_e32 v5, 4, v5
	v_sub_nc_u32_e32 v4, v5, v4
	v_ashrrev_i32_e32 v5, 8, v6
	v_add_nc_u32_e32 v4, 0x3c000000, v4
	v_and_or_b32 v4, 0x7f800000, v5, v4
	v_cndmask_b32_e32 v3, 0, v4, vcc_lo
	v_and_or_b32 v2, 0x80000000, v2, v3
	v_cvt_f64_f32_e32 v[4:5], v2
.LBB8_109:
	s_or_b32 exec_lo, exec_lo, s10
.LBB8_110:
	s_andn2_saveexec_b32 s9, s9
	s_cbranch_execz .LBB8_112
; %bb.111:
	flat_load_ubyte v2, v[0:1]
	s_waitcnt vmcnt(0) lgkmcnt(0)
	v_lshlrev_b32_e32 v3, 25, v2
	v_lshlrev_b16 v2, 8, v2
	v_lshrrev_b32_e32 v4, 4, v3
	v_and_or_b32 v5, 0x7f00, v2, 0.5
	v_cmp_gt_u32_e32 vcc_lo, 0x8000000, v3
	v_bfe_i32 v2, v2, 0, 16
	v_or_b32_e32 v4, 0x70000000, v4
	v_add_f32_e32 v5, -0.5, v5
	v_mul_f32_e32 v4, 0x7800000, v4
	v_cndmask_b32_e32 v3, v4, v5, vcc_lo
	v_and_or_b32 v2, 0x80000000, v2, v3
	v_cvt_f64_f32_e32 v[4:5], v2
.LBB8_112:
	s_or_b32 exec_lo, exec_lo, s9
	s_or_b32 s9, s7, exec_lo
                                        ; implicit-def: $vgpr3
.LBB8_113:
	s_or_saveexec_b32 s5, s5
	s_mov_b32 s10, 0
	s_mov_b32 s11, s8
	s_xor_b32 exec_lo, exec_lo, s5
	s_cbranch_execz .LBB8_121
; %bb.114:
	v_mov_b32_e32 v2, 14
	s_mov_b32 s10, s8
	s_mov_b32 s11, s9
                                        ; implicit-def: $vgpr4_vgpr5
	v_cmp_gt_i16_sdwa s12, v3, v2 src0_sel:BYTE_0 src1_sel:DWORD
	s_and_saveexec_b32 s13, s12
	s_xor_b32 s12, exec_lo, s13
	s_cbranch_execz .LBB8_118
; %bb.115:
	v_mov_b32_e32 v2, 15
	s_mov_b32 s10, -1
	s_mov_b32 s11, s9
                                        ; implicit-def: $vgpr4_vgpr5
	v_cmp_eq_u16_sdwa s14, v3, v2 src0_sel:BYTE_0 src1_sel:DWORD
	s_and_saveexec_b32 s13, s14
	s_cbranch_execz .LBB8_117
; %bb.116:
	flat_load_ushort v2, v[0:1]
	s_or_b32 s11, s9, exec_lo
	s_xor_b32 s10, exec_lo, -1
	s_waitcnt vmcnt(0) lgkmcnt(0)
	v_lshlrev_b32_e32 v2, 16, v2
	v_cvt_f64_f32_e32 v[4:5], v2
.LBB8_117:
	s_or_b32 exec_lo, exec_lo, s13
	s_andn2_b32 s13, s9, exec_lo
	s_and_b32 s11, s11, exec_lo
	s_andn2_b32 s14, s8, exec_lo
	s_and_b32 s10, s10, exec_lo
	s_or_b32 s11, s13, s11
	s_or_b32 s10, s14, s10
                                        ; implicit-def: $vgpr3
.LBB8_118:
	s_or_saveexec_b32 s12, s12
	s_mov_b32 s13, 0
	s_xor_b32 exec_lo, exec_lo, s12
; %bb.119:
	v_mov_b32_e32 v2, 11
	s_andn2_b32 s10, s10, exec_lo
	s_mov_b32 s13, exec_lo
	v_cmp_ne_u16_sdwa s14, v3, v2 src0_sel:BYTE_0 src1_sel:DWORD
	s_and_b32 s14, s14, exec_lo
	s_or_b32 s10, s10, s14
; %bb.120:
	s_or_b32 exec_lo, exec_lo, s12
	s_andn2_b32 s9, s9, exec_lo
	s_and_b32 s11, s11, exec_lo
	s_and_b32 s12, s10, exec_lo
	s_or_b32 s9, s9, s11
	s_andn2_b32 s11, s8, exec_lo
	s_and_b32 s10, s13, exec_lo
	s_or_b32 s11, s11, s12
.LBB8_121:
	s_or_b32 exec_lo, exec_lo, s5
	s_andn2_b32 s5, s7, exec_lo
	s_and_b32 s7, s9, exec_lo
	s_andn2_b32 s8, s8, exec_lo
	s_and_b32 s9, s11, exec_lo
	s_or_b32 s7, s5, s7
	s_and_b32 s5, s10, exec_lo
	s_or_b32 s8, s8, s9
	s_or_b32 exec_lo, exec_lo, s6
	s_and_saveexec_b32 s6, s8
	s_cbranch_execz .LBB8_38
.LBB8_122:
	s_trap 2
	; divergent unreachable
	s_andn2_b32 s5, s5, exec_lo
	s_or_b32 exec_lo, exec_lo, s6
	s_and_saveexec_b32 s6, s5
	s_xor_b32 s5, exec_lo, s6
	s_cbranch_execnz .LBB8_39
	s_branch .LBB8_40
.LBB8_123:
	s_andn2_saveexec_b32 s5, s5
	s_cbranch_execz .LBB8_125
.LBB8_124:
	s_mov_b32 s6, 0x6dc9c883
	s_mov_b32 s7, 0x3fe45f30
	;; [unrolled: 1-line block ×3, first 2 shown]
	v_mul_f64 v[2:3], |v[0:1]|, s[6:7]
	s_mov_b32 s6, 0x54442d18
	s_mov_b32 s7, 0xbff921fb
	;; [unrolled: 1-line block ×3, first 2 shown]
	v_rndne_f64_e32 v[8:9], v[2:3]
	v_fma_f64 v[2:3], v[8:9], s[6:7], |v[0:1]|
	v_mul_f64 v[6:7], v[8:9], s[8:9]
	s_mov_b32 s6, 0x252049c0
	s_mov_b32 s7, 0xb97b839a
	v_fma_f64 v[20:21], v[8:9], s[8:9], v[2:3]
	v_add_f64 v[10:11], v[2:3], v[6:7]
	s_mov_b32 s9, 0x3c91a626
	v_add_f64 v[2:3], v[2:3], -v[10:11]
	v_add_f64 v[10:11], v[10:11], -v[20:21]
	v_add_f64 v[2:3], v[2:3], v[6:7]
	v_fma_f64 v[6:7], v[8:9], s[8:9], v[6:7]
	v_add_f64 v[2:3], v[10:11], v[2:3]
	v_add_f64 v[2:3], v[2:3], -v[6:7]
	v_fma_f64 v[6:7], v[8:9], s[6:7], v[2:3]
	v_add_f64 v[2:3], v[20:21], v[6:7]
	v_add_f64 v[10:11], v[2:3], -v[20:21]
	v_cvt_i32_f64_e32 v20, v[8:9]
	v_add_f64 v[6:7], v[6:7], -v[10:11]
.LBB8_125:
	s_or_b32 exec_lo, exec_lo, s5
                                        ; implicit-def: $vgpr21
                                        ; implicit-def: $vgpr8_vgpr9
                                        ; implicit-def: $vgpr10_vgpr11
	s_and_saveexec_b32 s5, s4
	s_xor_b32 s4, exec_lo, s5
	s_cbranch_execz .LBB8_127
; %bb.126:
	v_cmp_le_f64_e64 vcc_lo, 0x7b000000, |v[0:1]|
	v_mov_b32_e32 v31, 0
	s_mov_b32 s6, 0x54442d18
	s_mov_b32 s7, 0x3ff921fb
	;; [unrolled: 1-line block ×4, first 2 shown]
	v_cndmask_b32_e32 v9, v22, v19, vcc_lo
	v_cndmask_b32_e32 v8, v0, v18, vcc_lo
	v_mul_f64 v[10:11], v[16:17], v[8:9]
	v_mul_f64 v[18:19], v[14:15], v[8:9]
	;; [unrolled: 1-line block ×3, first 2 shown]
	v_fma_f64 v[16:17], v[16:17], v[8:9], -v[10:11]
	v_fma_f64 v[14:15], v[14:15], v[8:9], -v[18:19]
	;; [unrolled: 1-line block ×3, first 2 shown]
	v_add_f64 v[21:22], v[18:19], v[16:17]
	v_add_f64 v[23:24], v[21:22], -v[18:19]
	v_add_f64 v[27:28], v[10:11], v[21:22]
	v_add_f64 v[25:26], v[21:22], -v[23:24]
	v_add_f64 v[16:17], v[16:17], -v[23:24]
	v_ldexp_f64 v[23:24], v[27:28], -2
	v_add_f64 v[10:11], v[27:28], -v[10:11]
	v_add_f64 v[18:19], v[18:19], -v[25:26]
	v_add_f64 v[25:26], v[29:30], v[14:15]
	v_cmp_neq_f64_e64 vcc_lo, 0x7ff00000, |v[23:24]|
	v_add_f64 v[10:11], v[21:22], -v[10:11]
	v_add_f64 v[16:17], v[16:17], v[18:19]
	v_fract_f64_e32 v[18:19], v[23:24]
	v_add_f64 v[21:22], v[25:26], v[16:17]
	v_ldexp_f64 v[18:19], v[18:19], 2
	v_add_f64 v[23:24], v[10:11], v[21:22]
	v_cndmask_b32_e32 v19, 0, v19, vcc_lo
	v_cndmask_b32_e32 v18, 0, v18, vcc_lo
	v_add_f64 v[27:28], v[23:24], v[18:19]
	v_add_f64 v[10:11], v[23:24], -v[10:11]
	v_cmp_gt_f64_e32 vcc_lo, 0, v[27:28]
	v_add_f64 v[27:28], v[25:26], -v[29:30]
	v_add_f64 v[10:11], v[21:22], -v[10:11]
	v_cndmask_b32_e64 v32, 0, 0x40100000, vcc_lo
	v_add_f64 v[36:37], v[25:26], -v[27:28]
	v_add_f64 v[14:15], v[14:15], -v[27:28]
	v_add_f64 v[18:19], v[18:19], v[31:32]
	v_add_f64 v[32:33], v[21:22], -v[25:26]
	v_add_f64 v[27:28], v[29:30], -v[36:37]
	v_add_f64 v[34:35], v[23:24], v[18:19]
	;; [unrolled: 3-line block ×3, first 2 shown]
	v_cvt_i32_f64_e32 v34, v[34:35]
	v_add_f64 v[25:26], v[25:26], -v[38:39]
	v_cvt_f64_i32_e32 v[32:33], v34
	v_add_f64 v[16:17], v[16:17], v[25:26]
	v_add_f64 v[18:19], v[18:19], -v[32:33]
	v_add_f64 v[12:13], v[14:15], v[16:17]
	v_add_f64 v[14:15], v[23:24], v[18:19]
	;; [unrolled: 1-line block ×3, first 2 shown]
	v_add_f64 v[12:13], v[14:15], -v[18:19]
	v_cmp_le_f64_e32 vcc_lo, 0.5, v[14:15]
	v_add_f64 v[8:9], v[10:11], v[8:9]
	v_add_f64 v[10:11], v[23:24], -v[12:13]
	v_cndmask_b32_e64 v32, 0, 0x3ff00000, vcc_lo
	v_add_co_ci_u32_e64 v21, null, 0, v34, vcc_lo
	v_add_f64 v[8:9], v[8:9], v[10:11]
	v_add_f64 v[10:11], v[14:15], -v[31:32]
	v_add_f64 v[12:13], v[10:11], v[8:9]
	v_mul_f64 v[14:15], v[12:13], s[6:7]
	v_add_f64 v[10:11], v[12:13], -v[10:11]
	v_fma_f64 v[16:17], v[12:13], s[6:7], -v[14:15]
	v_add_f64 v[8:9], v[8:9], -v[10:11]
	v_fma_f64 v[10:11], v[12:13], s[8:9], v[16:17]
	v_fma_f64 v[10:11], v[8:9], s[6:7], v[10:11]
	v_add_f64 v[8:9], v[14:15], v[10:11]
	v_add_f64 v[12:13], v[8:9], -v[14:15]
	v_add_f64 v[10:11], v[10:11], -v[12:13]
	s_andn2_saveexec_b32 s4, s4
	s_cbranch_execnz .LBB8_128
	s_branch .LBB8_129
.LBB8_127:
	s_andn2_saveexec_b32 s4, s4
	s_cbranch_execz .LBB8_129
.LBB8_128:
	s_mov_b32 s6, 0x6dc9c883
	s_mov_b32 s7, 0x3fe45f30
	;; [unrolled: 1-line block ×3, first 2 shown]
	v_mul_f64 v[8:9], |v[0:1]|, s[6:7]
	s_mov_b32 s6, 0x54442d18
	s_mov_b32 s7, 0xbff921fb
	;; [unrolled: 1-line block ×3, first 2 shown]
	v_rndne_f64_e32 v[12:13], v[8:9]
	v_fma_f64 v[8:9], v[12:13], s[6:7], |v[0:1]|
	v_mul_f64 v[10:11], v[12:13], s[8:9]
	s_mov_b32 s6, 0x252049c0
	s_mov_b32 s7, 0xb97b839a
	v_cvt_i32_f64_e32 v21, v[12:13]
	v_fma_f64 v[16:17], v[12:13], s[8:9], v[8:9]
	v_add_f64 v[14:15], v[8:9], v[10:11]
	s_mov_b32 s9, 0x3c91a626
	v_add_f64 v[8:9], v[8:9], -v[14:15]
	v_add_f64 v[14:15], v[14:15], -v[16:17]
	v_add_f64 v[8:9], v[8:9], v[10:11]
	v_fma_f64 v[10:11], v[12:13], s[8:9], v[10:11]
	v_add_f64 v[8:9], v[14:15], v[8:9]
	v_add_f64 v[8:9], v[8:9], -v[10:11]
	v_fma_f64 v[10:11], v[12:13], s[6:7], v[8:9]
	v_add_f64 v[8:9], v[16:17], v[10:11]
	v_add_f64 v[14:15], v[8:9], -v[16:17]
	v_add_f64 v[10:11], v[10:11], -v[14:15]
.LBB8_129:
	s_or_b32 exec_lo, exec_lo, s4
	v_div_scale_f64 v[12:13], null, v[4:5], v[4:5], 0x40140000
	v_div_scale_f64 v[18:19], vcc_lo, 0x40140000, v[4:5], 0x40140000
	s_mov_b32 s4, 0x4c6c651b
	s_mov_b32 s6, 0x13443d69
	;; [unrolled: 1-line block ×8, first 2 shown]
	v_mul_f64 v[26:27], v[2:3], v[2:3]
	s_mov_b32 s12, 0xf9a43bb8
	s_mov_b32 s13, 0x3de5e0b2
	;; [unrolled: 1-line block ×6, first 2 shown]
	v_mul_f64 v[48:49], v[8:9], v[8:9]
	s_mov_b32 s22, 0x19e83e5c
	s_mov_b32 s23, 0xbf2a01a0
	v_rcp_f64_e32 v[14:15], v[12:13]
	s_mov_b32 s20, 0x16c16967
	s_mov_b32 s21, 0xbf56c16c
	;; [unrolled: 1-line block ×4, first 2 shown]
	v_mul_f64 v[28:29], v[26:27], 0.5
	v_mul_f64 v[70:71], v[2:3], -v[26:27]
	v_mul_f64 v[68:69], v[26:27], v[26:27]
	v_mul_f64 v[64:65], v[48:49], 0.5
	v_fma_f64 v[16:17], -v[12:13], v[14:15], 1.0
	v_add_f64 v[34:35], -v[28:29], 1.0
	v_add_f64 v[80:81], -v[64:65], 1.0
	v_fma_f64 v[14:15], v[14:15], v[16:17], v[14:15]
	v_add_f64 v[50:51], -v[34:35], 1.0
	v_fma_f64 v[16:17], -v[12:13], v[14:15], 1.0
	v_add_f64 v[28:29], v[50:51], -v[28:29]
	v_fma_f64 v[14:15], v[14:15], v[16:17], v[14:15]
	v_fma_f64 v[28:29], v[2:3], -v[6:7], v[28:29]
	v_mul_f64 v[16:17], v[18:19], v[14:15]
	v_fma_f64 v[12:13], -v[12:13], v[16:17], v[18:19]
	v_div_fmas_f64 v[12:13], v[12:13], v[14:15], v[16:17]
	v_div_fixup_f64 v[12:13], v[12:13], v[4:5], 0x40140000
	v_mul_f64 v[14:15], v[12:13], v[12:13]
	v_fma_f64 v[16:17], v[14:15], 0, s[6:7]
	v_fma_f64 v[18:19], v[14:15], 0, s[4:5]
	v_fma_f64 v[22:23], v[14:15], 0, s[8:9]
	s_mov_b32 s4, 0xa3fec4b6
	s_mov_b32 s6, 0x5948aa83
	s_mov_b32 s8, 0xc66d8fd6
	s_mov_b32 s5, 0x3fb2b948
	s_mov_b32 s7, 0x3fb19fdd
	s_mov_b32 s9, 0x4013edb5
	v_fma_f64 v[24:25], v[14:15], 0, s[10:11]
	s_mov_b32 s10, 0xa20e5f6f
	s_mov_b32 s11, 0x409081cb
	v_fma_f64 v[16:17], v[14:15], v[16:17], s[6:7]
	v_fma_f64 v[18:19], v[14:15], v[18:19], s[4:5]
	v_fma_f64 v[22:23], v[14:15], v[22:23], s[8:9]
	s_mov_b32 s4, 0xc21596d6
	s_mov_b32 s6, 0xb850eed6
	s_mov_b32 s8, 0x9acf1c67
	s_mov_b32 s5, 0x3ff208fe
	s_mov_b32 s7, 0x3ff1aea9
	s_mov_b32 s9, 0x4052f4b9
	v_fma_f64 v[24:25], v[14:15], v[24:25], s[10:11]
	s_mov_b32 s10, 0x1bfdfe81
	s_mov_b32 s11, 0x40b37a69
	;; [unrolled: 12-line block ×6, first 2 shown]
	v_fma_f64 v[30:31], v[26:27], s[8:9], s[6:7]
	v_fma_f64 v[16:17], v[14:15], v[16:17], 1.0
	v_fma_f64 v[18:19], v[14:15], v[18:19], 1.0
	v_fma_f64 v[22:23], v[14:15], v[22:23], s[4:5]
	s_mov_b32 s4, 0x4d159eb5
	s_mov_b32 s5, 0x403934ff
	v_fma_f64 v[24:25], v[14:15], v[24:25], s[10:11]
	s_mov_b32 s10, 0xa17f65f6
	s_mov_b32 s11, 0xbe927e4f
	v_fma_f64 v[30:31], v[26:27], v[30:31], s[10:11]
	v_div_scale_f64 v[32:33], null, v[16:17], v[16:17], v[18:19]
	v_fma_f64 v[14:15], v[14:15], v[22:23], s[4:5]
	s_mov_b32 s4, 0xb42fdfa7
	s_mov_b32 s5, 0xbe5ae600
	v_fma_f64 v[22:23], v[26:27], s[12:13], s[4:5]
	v_fma_f64 v[66:67], v[48:49], s[12:13], s[4:5]
	v_cmp_gt_f64_e64 s4, 0x10000000, v[4:5]
	s_mov_b32 s12, 0x55555555
	s_mov_b32 s13, 0x3fa55555
	v_fma_f64 v[30:31], v[26:27], v[30:31], s[14:15]
	v_rcp_f64_e32 v[36:37], v[32:33]
	v_div_scale_f64 v[38:39], null, v[24:25], v[24:25], v[14:15]
	v_fma_f64 v[22:23], v[26:27], v[22:23], s[18:19]
	v_fma_f64 v[66:67], v[48:49], v[66:67], s[18:19]
	;; [unrolled: 1-line block ×3, first 2 shown]
	v_rcp_f64_e32 v[52:53], v[38:39]
	v_fma_f64 v[54:55], -v[32:33], v[36:37], 1.0
	v_fma_f64 v[22:23], v[26:27], v[22:23], s[22:23]
	v_fma_f64 v[66:67], v[48:49], v[66:67], s[22:23]
	;; [unrolled: 1-line block ×4, first 2 shown]
	v_fma_f64 v[50:51], -v[38:39], v[52:53], 1.0
	v_mul_f64 v[54:55], v[6:7], 0.5
	v_fma_f64 v[22:23], v[26:27], v[22:23], s[24:25]
	v_fma_f64 v[28:29], v[68:69], v[30:31], v[28:29]
	v_div_scale_f64 v[30:31], vcc_lo, v[18:19], v[16:17], v[18:19]
	v_fma_f64 v[82:83], -v[32:33], v[36:37], 1.0
	v_fma_f64 v[50:51], v[52:53], v[50:51], v[52:53]
	v_cndmask_b32_e64 v52, 0, 0x100, s4
	v_fma_f64 v[22:23], v[70:71], v[22:23], v[54:55]
	v_add_f64 v[54:55], -v[80:81], 1.0
	v_ldexp_f64 v[4:5], v[4:5], v52
	v_fma_f64 v[52:53], v[48:49], s[8:9], s[6:7]
	v_add_f64 v[28:29], v[34:35], v[28:29]
	v_fma_f64 v[36:37], v[36:37], v[82:83], v[36:37]
	v_fma_f64 v[68:69], -v[38:39], v[50:51], 1.0
	v_mul_f64 v[82:83], v[10:11], 0.5
	v_fma_f64 v[6:7], v[26:27], v[22:23], -v[6:7]
	v_mul_f64 v[22:23], v[8:9], -v[48:49]
	v_add_f64 v[54:55], v[54:55], -v[64:65]
	v_fma_f64 v[64:65], v[48:49], v[66:67], s[24:25]
	v_rsq_f64_e32 v[26:27], v[4:5]
	v_fma_f64 v[52:53], v[48:49], v[52:53], s[10:11]
	v_mul_f64 v[66:67], v[30:31], v[36:37]
	v_fma_f64 v[50:51], v[50:51], v[68:69], v[50:51]
	v_div_scale_f64 v[68:69], s5, v[14:15], v[24:25], v[14:15]
	v_fma_f64 v[64:65], v[22:23], v[64:65], v[82:83]
	v_fma_f64 v[52:53], v[48:49], v[52:53], s[14:15]
	v_mul_f64 v[82:83], v[4:5], v[26:27]
	v_mul_f64 v[26:27], v[26:27], 0.5
	v_fma_f64 v[30:31], -v[32:33], v[66:67], v[30:31]
	v_mul_f64 v[32:33], v[68:69], v[50:51]
	v_fma_f64 v[64:65], v[48:49], v[64:65], -v[10:11]
	v_fma_f64 v[10:11], v[8:9], -v[10:11], v[54:55]
	v_fma_f64 v[52:53], v[48:49], v[52:53], s[20:21]
	v_div_fmas_f64 v[30:31], v[30:31], v[36:37], v[66:67]
	s_mov_b32 vcc_lo, s5
	v_fma_f64 v[38:39], -v[38:39], v[32:33], v[68:69]
	v_fma_f64 v[68:69], -v[26:27], v[82:83], 0.5
	v_cmp_class_f64_e64 s5, v[0:1], 0x1f8
	v_and_b32_e32 v0, 1, v21
	v_lshlrev_b32_e32 v21, 30, v21
	v_fma_f64 v[52:53], v[48:49], v[52:53], s[12:13]
	v_mul_f64 v[48:49], v[48:49], v[48:49]
	s_mov_b32 s13, 0xbfc55555
	v_cmp_eq_u32_e64 s6, 0, v0
	v_fma_f64 v[6:7], v[70:71], s[12:13], v[6:7]
	v_fma_f64 v[22:23], v[22:23], s[12:13], v[64:65]
	v_div_fmas_f64 v[32:33], v[38:39], v[50:51], v[32:33]
	v_fma_f64 v[54:55], v[82:83], v[68:69], v[82:83]
	v_fma_f64 v[26:27], v[26:27], v[68:69], v[26:27]
	;; [unrolled: 1-line block ×3, first 2 shown]
	v_add_f64 v[2:3], v[2:3], -v[6:7]
	v_add_f64 v[8:9], v[8:9], -v[22:23]
	v_and_b32_e32 v22, 1, v20
	v_cmp_eq_u32_e32 vcc_lo, 0, v22
	v_div_fixup_f64 v[6:7], v[32:33], v[24:25], v[14:15]
	v_fma_f64 v[36:37], -v[54:55], v[54:55], v[4:5]
	v_add_f64 v[10:11], v[80:81], v[10:11]
	v_cndmask_b32_e32 v2, v28, v2, vcc_lo
	v_xor_b32_e32 v0, 0x80000000, v9
	v_and_b32_e32 v9, 0x80000000, v21
	v_mul_f64 v[6:7], v[12:13], v[6:7]
	v_fma_f64 v[14:15], v[36:37], v[26:27], v[54:55]
	v_div_fixup_f64 v[12:13], v[30:31], v[16:17], v[18:19]
	v_cndmask_b32_e64 v0, v0, v11, s6
	v_cndmask_b32_e64 v10, v8, v10, s6
	v_xor_b32_e32 v11, v0, v9
	v_cndmask_b32_e64 v10, 0, v10, s5
	v_cndmask_b32_e64 v0, 0, v2, s5
	v_lshlrev_b32_e32 v2, 30, v20
	v_cndmask_b32_e64 v11, 0x7ff80000, v11, s5
	v_xor_b32_e32 v1, v2, v1
	v_cndmask_b32_e32 v2, v29, v3, vcc_lo
	v_mul_f64 v[6:7], v[6:7], v[10:11]
	v_fma_f64 v[8:9], -v[14:15], v[14:15], v[4:5]
	v_cmp_class_f64_e64 vcc_lo, v[4:5], 0x260
	v_and_b32_e32 v1, 0x80000000, v1
	v_xor_b32_e32 v1, v2, v1
	v_cndmask_b32_e64 v1, 0x7ff80000, v1, s5
	v_fma_f64 v[0:1], v[12:13], v[0:1], v[6:7]
	v_fma_f64 v[2:3], v[8:9], v[26:27], v[14:15]
	v_cndmask_b32_e64 v6, 0, 0xffffff80, s4
	s_mov_b32 s4, 0x33d43651
	s_mov_b32 s5, 0x3fe98845
	v_mul_f64 v[0:1], v[0:1], s[4:5]
	v_ldexp_f64 v[2:3], v[2:3], v6
	v_cndmask_b32_e32 v3, v3, v5, vcc_lo
	v_cndmask_b32_e32 v2, v2, v4, vcc_lo
	v_div_scale_f64 v[4:5], null, v[2:3], v[2:3], v[0:1]
	v_rcp_f64_e32 v[6:7], v[4:5]
	v_fma_f64 v[8:9], -v[4:5], v[6:7], 1.0
	v_fma_f64 v[6:7], v[6:7], v[8:9], v[6:7]
	v_fma_f64 v[8:9], -v[4:5], v[6:7], 1.0
	v_fma_f64 v[6:7], v[6:7], v[8:9], v[6:7]
	v_div_scale_f64 v[8:9], vcc_lo, v[0:1], v[2:3], v[0:1]
	v_mul_f64 v[10:11], v[8:9], v[6:7]
	v_fma_f64 v[4:5], -v[4:5], v[10:11], v[8:9]
	v_div_fmas_f64 v[4:5], v[4:5], v[6:7], v[10:11]
	v_div_fixup_f64 v[0:1], v[4:5], v[2:3], v[0:1]
.LBB8_130:
	s_or_b32 exec_lo, exec_lo, s17
	s_or_b32 exec_lo, exec_lo, s16
	s_setpc_b64 s[30:31]
.Lfunc_end8:
	.size	_ZN2at6native6invokeIZZZNS0_12_GLOBAL__N_121bessel_y1_kernel_cudaERNS_18TensorIteratorBaseEENKUlvE_clEvENKUlvE_clEvEUldE_i15function_traitsIS7_EEENT1_11result_typeERKT_PrKPcPKT0_PKN3c1010ScalarTypeEi, .Lfunc_end8-_ZN2at6native6invokeIZZZNS0_12_GLOBAL__N_121bessel_y1_kernel_cudaERNS_18TensorIteratorBaseEENKUlvE_clEvENKUlvE_clEvEUldE_i15function_traitsIS7_EEENT1_11result_typeERKT_PrKPcPKT0_PKN3c1010ScalarTypeEi
                                        ; -- End function
	.set .L_ZN2at6native6invokeIZZZNS0_12_GLOBAL__N_121bessel_y1_kernel_cudaERNS_18TensorIteratorBaseEENKUlvE_clEvENKUlvE_clEvEUldE_i15function_traitsIS7_EEENT1_11result_typeERKT_PrKPcPKT0_PKN3c1010ScalarTypeEi.num_vgpr, 84
	.set .L_ZN2at6native6invokeIZZZNS0_12_GLOBAL__N_121bessel_y1_kernel_cudaERNS_18TensorIteratorBaseEENKUlvE_clEvENKUlvE_clEvEUldE_i15function_traitsIS7_EEENT1_11result_typeERKT_PrKPcPKT0_PKN3c1010ScalarTypeEi.num_agpr, 0
	.set .L_ZN2at6native6invokeIZZZNS0_12_GLOBAL__N_121bessel_y1_kernel_cudaERNS_18TensorIteratorBaseEENKUlvE_clEvENKUlvE_clEvEUldE_i15function_traitsIS7_EEENT1_11result_typeERKT_PrKPcPKT0_PKN3c1010ScalarTypeEi.numbered_sgpr, 32
	.set .L_ZN2at6native6invokeIZZZNS0_12_GLOBAL__N_121bessel_y1_kernel_cudaERNS_18TensorIteratorBaseEENKUlvE_clEvENKUlvE_clEvEUldE_i15function_traitsIS7_EEENT1_11result_typeERKT_PrKPcPKT0_PKN3c1010ScalarTypeEi.num_named_barrier, 0
	.set .L_ZN2at6native6invokeIZZZNS0_12_GLOBAL__N_121bessel_y1_kernel_cudaERNS_18TensorIteratorBaseEENKUlvE_clEvENKUlvE_clEvEUldE_i15function_traitsIS7_EEENT1_11result_typeERKT_PrKPcPKT0_PKN3c1010ScalarTypeEi.private_seg_size, 0
	.set .L_ZN2at6native6invokeIZZZNS0_12_GLOBAL__N_121bessel_y1_kernel_cudaERNS_18TensorIteratorBaseEENKUlvE_clEvENKUlvE_clEvEUldE_i15function_traitsIS7_EEENT1_11result_typeERKT_PrKPcPKT0_PKN3c1010ScalarTypeEi.uses_vcc, 1
	.set .L_ZN2at6native6invokeIZZZNS0_12_GLOBAL__N_121bessel_y1_kernel_cudaERNS_18TensorIteratorBaseEENKUlvE_clEvENKUlvE_clEvEUldE_i15function_traitsIS7_EEENT1_11result_typeERKT_PrKPcPKT0_PKN3c1010ScalarTypeEi.uses_flat_scratch, 0
	.set .L_ZN2at6native6invokeIZZZNS0_12_GLOBAL__N_121bessel_y1_kernel_cudaERNS_18TensorIteratorBaseEENKUlvE_clEvENKUlvE_clEvEUldE_i15function_traitsIS7_EEENT1_11result_typeERKT_PrKPcPKT0_PKN3c1010ScalarTypeEi.has_dyn_sized_stack, 0
	.set .L_ZN2at6native6invokeIZZZNS0_12_GLOBAL__N_121bessel_y1_kernel_cudaERNS_18TensorIteratorBaseEENKUlvE_clEvENKUlvE_clEvEUldE_i15function_traitsIS7_EEENT1_11result_typeERKT_PrKPcPKT0_PKN3c1010ScalarTypeEi.has_recursion, 0
	.set .L_ZN2at6native6invokeIZZZNS0_12_GLOBAL__N_121bessel_y1_kernel_cudaERNS_18TensorIteratorBaseEENKUlvE_clEvENKUlvE_clEvEUldE_i15function_traitsIS7_EEENT1_11result_typeERKT_PrKPcPKT0_PKN3c1010ScalarTypeEi.has_indirect_call, 0
	.section	.AMDGPU.csdata,"",@progbits
; Function info:
; codeLenInByte = 7788
; TotalNumSgprs: 34
; NumVgprs: 84
; ScratchSize: 0
; MemoryBound: 1
	.section	.text._ZN2at6native32elementwise_kernel_manual_unrollILi128ELi4EZNS0_15gpu_kernel_implIZZZNS0_12_GLOBAL__N_121bessel_y1_kernel_cudaERNS_18TensorIteratorBaseEENKUlvE_clEvENKUlvE_clEvEUldE_EEvS5_RKT_EUlibE_EEviT1_,"axG",@progbits,_ZN2at6native32elementwise_kernel_manual_unrollILi128ELi4EZNS0_15gpu_kernel_implIZZZNS0_12_GLOBAL__N_121bessel_y1_kernel_cudaERNS_18TensorIteratorBaseEENKUlvE_clEvENKUlvE_clEvEUldE_EEvS5_RKT_EUlibE_EEviT1_,comdat
	.globl	_ZN2at6native32elementwise_kernel_manual_unrollILi128ELi4EZNS0_15gpu_kernel_implIZZZNS0_12_GLOBAL__N_121bessel_y1_kernel_cudaERNS_18TensorIteratorBaseEENKUlvE_clEvENKUlvE_clEvEUldE_EEvS5_RKT_EUlibE_EEviT1_ ; -- Begin function _ZN2at6native32elementwise_kernel_manual_unrollILi128ELi4EZNS0_15gpu_kernel_implIZZZNS0_12_GLOBAL__N_121bessel_y1_kernel_cudaERNS_18TensorIteratorBaseEENKUlvE_clEvENKUlvE_clEvEUldE_EEvS5_RKT_EUlibE_EEviT1_
	.p2align	8
	.type	_ZN2at6native32elementwise_kernel_manual_unrollILi128ELi4EZNS0_15gpu_kernel_implIZZZNS0_12_GLOBAL__N_121bessel_y1_kernel_cudaERNS_18TensorIteratorBaseEENKUlvE_clEvENKUlvE_clEvEUldE_EEvS5_RKT_EUlibE_EEviT1_,@function
_ZN2at6native32elementwise_kernel_manual_unrollILi128ELi4EZNS0_15gpu_kernel_implIZZZNS0_12_GLOBAL__N_121bessel_y1_kernel_cudaERNS_18TensorIteratorBaseEENKUlvE_clEvENKUlvE_clEvEUldE_EEvS5_RKT_EUlibE_EEviT1_: ; @_ZN2at6native32elementwise_kernel_manual_unrollILi128ELi4EZNS0_15gpu_kernel_implIZZZNS0_12_GLOBAL__N_121bessel_y1_kernel_cudaERNS_18TensorIteratorBaseEENKUlvE_clEvENKUlvE_clEvEUldE_EEvS5_RKT_EUlibE_EEviT1_
; %bb.0:
	v_mov_b32_e32 v1, 0
	s_clause 0x2
	s_load_dword s35, s[4:5], 0x0
	s_load_dwordx2 s[26:27], s[4:5], 0x18
	s_load_dwordx4 s[36:39], s[4:5], 0x8
	v_lshl_or_b32 v46, s6, 9, v0
	v_mov_b32_e32 v0, 8
	s_add_u32 s0, s0, s7
	global_load_ushort v1, v1, s[4:5] offset:33
	s_addc_u32 s1, s1, 0
	v_or_b32_e32 v56, 0x180, v46
	s_mov_b32 s29, 0
	s_mov_b32 s34, 0
	;; [unrolled: 1-line block ×3, first 2 shown]
	s_mov_b32 s4, exec_lo
	s_waitcnt vmcnt(0)
	v_readfirstlane_b32 s28, v1
	v_lshrrev_b32_sdwa v47, v0, v1 dst_sel:DWORD dst_unused:UNUSED_PAD src0_sel:DWORD src1_sel:WORD_0
	s_waitcnt lgkmcnt(0)
	v_cmpx_le_i32_e64 s35, v56
	s_xor_b32 s33, exec_lo, s4
	s_cbranch_execz .LBB9_512
; %bb.1:
	s_mov_b32 s4, -1
	s_mov_b32 s41, 0
	s_mov_b32 s40, exec_lo
	v_cmpx_gt_i32_e64 s35, v46
                                        ; implicit-def: $vgpr2_vgpr3
	s_cbranch_execz .LBB9_124
; %bb.2:
	v_mov_b32_e32 v0, s38
	v_mov_b32_e32 v1, s39
	;; [unrolled: 1-line block ×5, first 2 shown]
	s_getpc_b64 s[4:5]
	s_add_u32 s4, s4, _ZN2at6native6invokeIZZZNS0_12_GLOBAL__N_121bessel_y1_kernel_cudaERNS_18TensorIteratorBaseEENKUlvE_clEvENKUlvE_clEvEUldE_i15function_traitsIS7_EEENT1_11result_typeERKT_PrKPcPKT0_PKN3c1010ScalarTypeEi@rel32@lo+4
	s_addc_u32 s5, s5, _ZN2at6native6invokeIZZZNS0_12_GLOBAL__N_121bessel_y1_kernel_cudaERNS_18TensorIteratorBaseEENKUlvE_clEvENKUlvE_clEvEUldE_i15function_traitsIS7_EEENT1_11result_typeERKT_PrKPcPKT0_PKN3c1010ScalarTypeEi@rel32@hi+12
	s_swappc_b64 s[30:31], s[4:5]
	v_mul_lo_u32 v2, v46, s26
	s_and_b32 s5, s28, 0xff
	s_cmp_lt_i32 s5, 11
	v_ashrrev_i32_e32 v3, 31, v2
	v_add_co_u32 v4, vcc_lo, s36, v2
	v_add_co_ci_u32_e64 v5, null, s37, v3, vcc_lo
	s_cbranch_scc1 .LBB9_9
; %bb.3:
	s_and_b32 s6, 0xffff, s5
	s_cmp_gt_i32 s6, 25
	s_cbranch_scc0 .LBB9_12
; %bb.4:
	s_cmp_gt_i32 s6, 28
	s_cbranch_scc0 .LBB9_13
; %bb.5:
	s_cmp_gt_i32 s6, 43
	s_cbranch_scc0 .LBB9_14
; %bb.6:
	s_cmp_gt_i32 s6, 45
	s_cbranch_scc0 .LBB9_15
; %bb.7:
	s_mov_b32 s8, 0
	s_mov_b32 s4, -1
	s_cmp_eq_u32 s6, 46
	s_mov_b32 s7, 0
	s_cbranch_scc0 .LBB9_16
; %bb.8:
	v_cvt_f32_f64_e32 v2, v[0:1]
	s_mov_b32 s7, -1
	s_mov_b32 s4, 0
	v_bfe_u32 v3, v2, 16, 1
	v_cmp_o_f32_e32 vcc_lo, v2, v2
	v_add3_u32 v2, v2, v3, 0x7fff
	v_mov_b32_e32 v3, 0x7fc0
	v_cndmask_b32_sdwa v2, v3, v2, vcc_lo dst_sel:DWORD dst_unused:UNUSED_PAD src0_sel:DWORD src1_sel:WORD_1
	global_store_dword v[4:5], v2, off
	s_branch .LBB9_16
.LBB9_9:
	s_mov_b32 s4, 0
	s_mov_b32 s7, 0
	s_cbranch_execnz .LBB9_84
.LBB9_10:
	s_andn2_b32 vcc_lo, exec_lo, s7
	s_cbranch_vccnz .LBB9_122
.LBB9_11:
	v_add_nc_u32_e32 v46, 0x80, v46
	s_mov_b32 s5, -1
	s_branch .LBB9_123
.LBB9_12:
	s_mov_b32 s4, 0
	s_mov_b32 s7, 0
	s_cbranch_execnz .LBB9_43
	s_branch .LBB9_83
.LBB9_13:
	s_mov_b32 s8, -1
	s_mov_b32 s4, 0
	s_mov_b32 s7, 0
	s_branch .LBB9_26
.LBB9_14:
	s_mov_b32 s8, -1
	s_mov_b32 s4, 0
	s_mov_b32 s7, 0
	s_branch .LBB9_22
.LBB9_15:
	s_mov_b32 s8, -1
	s_mov_b32 s4, 0
	s_mov_b32 s7, 0
.LBB9_16:
	s_and_b32 vcc_lo, exec_lo, s8
	s_cbranch_vccz .LBB9_21
; %bb.17:
	s_cmp_eq_u32 s6, 44
	s_mov_b32 s4, -1
	s_cbranch_scc0 .LBB9_21
; %bb.18:
	v_cvt_f32_f64_e32 v2, v[0:1]
	v_mov_b32_e32 v3, 0xff
	s_mov_b32 s7, exec_lo
	v_bfe_u32 v6, v2, 23, 8
	v_cmpx_ne_u32_e32 0xff, v6
	s_cbranch_execz .LBB9_20
; %bb.19:
	v_and_b32_e32 v3, 0x400000, v2
	v_and_or_b32 v6, 0x3fffff, v2, v6
	v_lshrrev_b32_e32 v2, 23, v2
	v_cmp_ne_u32_e32 vcc_lo, 0, v3
	v_cmp_ne_u32_e64 s4, 0, v6
	s_and_b32 s4, vcc_lo, s4
	v_cndmask_b32_e64 v3, 0, 1, s4
	v_add_nc_u32_e32 v3, v2, v3
.LBB9_20:
	s_or_b32 exec_lo, exec_lo, s7
	s_mov_b32 s7, -1
	s_mov_b32 s4, 0
	global_store_byte v[4:5], v3, off
.LBB9_21:
	s_mov_b32 s8, 0
.LBB9_22:
	s_and_b32 vcc_lo, exec_lo, s8
	s_cbranch_vccz .LBB9_25
; %bb.23:
	s_cmp_eq_u32 s6, 29
	s_mov_b32 s4, -1
	s_cbranch_scc0 .LBB9_25
; %bb.24:
	v_trunc_f64_e32 v[2:3], v[0:1]
	s_mov_b32 s7, -1
	s_mov_b32 s4, 0
	s_mov_b32 s8, 0
	v_ldexp_f64 v[6:7], v[2:3], 0xffffffe0
	v_floor_f64_e32 v[6:7], v[6:7]
	v_fma_f64 v[2:3], 0xc1f00000, v[6:7], v[2:3]
	v_cvt_u32_f64_e32 v7, v[6:7]
	v_cvt_u32_f64_e32 v6, v[2:3]
	global_store_dwordx2 v[4:5], v[6:7], off
	s_branch .LBB9_26
.LBB9_25:
	s_mov_b32 s8, 0
.LBB9_26:
	s_and_b32 vcc_lo, exec_lo, s8
	s_cbranch_vccz .LBB9_42
; %bb.27:
	s_cmp_lt_i32 s6, 27
	s_mov_b32 s7, -1
	s_cbranch_scc1 .LBB9_33
; %bb.28:
	v_cvt_u32_f64_e32 v2, v[0:1]
	s_cmp_gt_i32 s6, 27
	s_cbranch_scc0 .LBB9_30
; %bb.29:
	s_mov_b32 s7, 0
	global_store_dword v[4:5], v2, off
.LBB9_30:
	s_andn2_b32 vcc_lo, exec_lo, s7
	s_cbranch_vccnz .LBB9_32
; %bb.31:
	global_store_short v[4:5], v2, off
.LBB9_32:
	s_mov_b32 s7, 0
.LBB9_33:
	s_andn2_b32 vcc_lo, exec_lo, s7
	s_cbranch_vccnz .LBB9_41
; %bb.34:
	v_cvt_f32_f64_e32 v2, v[0:1]
	v_mov_b32_e32 v6, 0x80
	s_mov_b32 s7, exec_lo
	v_and_b32_e32 v3, 0x7fffffff, v2
	v_cmpx_gt_u32_e32 0x43800000, v3
	s_cbranch_execz .LBB9_40
; %bb.35:
	v_cmp_lt_u32_e32 vcc_lo, 0x3bffffff, v3
	s_mov_b32 s8, 0
                                        ; implicit-def: $vgpr3
	s_and_saveexec_b32 s9, vcc_lo
	s_xor_b32 s9, exec_lo, s9
	s_cbranch_execz .LBB9_141
; %bb.36:
	v_bfe_u32 v3, v2, 20, 1
	s_mov_b32 s8, exec_lo
	v_add3_u32 v3, v2, v3, 0x487ffff
	v_lshrrev_b32_e32 v3, 20, v3
	s_andn2_saveexec_b32 s9, s9
	s_cbranch_execnz .LBB9_142
.LBB9_37:
	s_or_b32 exec_lo, exec_lo, s9
	v_mov_b32_e32 v6, 0
	s_and_saveexec_b32 s9, s8
.LBB9_38:
	v_lshrrev_b32_e32 v2, 24, v2
	v_and_or_b32 v6, 0x80, v2, v3
.LBB9_39:
	s_or_b32 exec_lo, exec_lo, s9
.LBB9_40:
	s_or_b32 exec_lo, exec_lo, s7
	global_store_byte v[4:5], v6, off
.LBB9_41:
	s_mov_b32 s7, -1
.LBB9_42:
	s_branch .LBB9_83
.LBB9_43:
	s_cmp_gt_i32 s6, 22
	s_mov_b32 s8, -1
	s_cbranch_scc0 .LBB9_75
; %bb.44:
	s_cmp_lt_i32 s6, 24
	s_mov_b32 s7, -1
	s_cbranch_scc1 .LBB9_64
; %bb.45:
	s_cmp_gt_i32 s6, 24
	s_cbranch_scc0 .LBB9_53
; %bb.46:
	v_cvt_f32_f64_e32 v2, v[0:1]
	v_mov_b32_e32 v6, 0x80
	s_mov_b32 s7, exec_lo
	v_and_b32_e32 v3, 0x7fffffff, v2
	v_cmpx_gt_u32_e32 0x47800000, v3
	s_cbranch_execz .LBB9_52
; %bb.47:
	v_cmp_lt_u32_e32 vcc_lo, 0x37ffffff, v3
	s_mov_b32 s8, 0
                                        ; implicit-def: $vgpr3
	s_and_saveexec_b32 s9, vcc_lo
	s_xor_b32 s9, exec_lo, s9
	s_cbranch_execz .LBB9_144
; %bb.48:
	v_bfe_u32 v3, v2, 21, 1
	s_mov_b32 s8, exec_lo
	v_add3_u32 v3, v2, v3, 0x88fffff
	v_lshrrev_b32_e32 v3, 21, v3
	s_andn2_saveexec_b32 s9, s9
	s_cbranch_execnz .LBB9_145
.LBB9_49:
	s_or_b32 exec_lo, exec_lo, s9
	v_mov_b32_e32 v6, 0
	s_and_saveexec_b32 s9, s8
.LBB9_50:
	v_lshrrev_b32_e32 v2, 24, v2
	v_and_or_b32 v6, 0x80, v2, v3
.LBB9_51:
	s_or_b32 exec_lo, exec_lo, s9
.LBB9_52:
	s_or_b32 exec_lo, exec_lo, s7
	s_mov_b32 s7, 0
	global_store_byte v[4:5], v6, off
.LBB9_53:
	s_and_b32 vcc_lo, exec_lo, s7
	s_cbranch_vccz .LBB9_63
; %bb.54:
	v_cvt_f32_f64_e32 v2, v[0:1]
	s_mov_b32 s7, exec_lo
                                        ; implicit-def: $vgpr3
	v_and_b32_e32 v6, 0x7fffffff, v2
	v_cmpx_gt_u32_e32 0x43f00000, v6
	s_xor_b32 s7, exec_lo, s7
	s_cbranch_execz .LBB9_60
; %bb.55:
	s_mov_b32 s8, exec_lo
                                        ; implicit-def: $vgpr3
	v_cmpx_lt_u32_e32 0x3c7fffff, v6
	s_xor_b32 s8, exec_lo, s8
; %bb.56:
	v_bfe_u32 v3, v2, 20, 1
	v_add3_u32 v3, v2, v3, 0x407ffff
	v_and_b32_e32 v6, 0xff00000, v3
	v_lshrrev_b32_e32 v3, 20, v3
	v_cmp_ne_u32_e32 vcc_lo, 0x7f00000, v6
	v_cndmask_b32_e32 v3, 0x7e, v3, vcc_lo
; %bb.57:
	s_andn2_saveexec_b32 s8, s8
; %bb.58:
	v_add_f32_e64 v3, 0x46800000, |v2|
; %bb.59:
	s_or_b32 exec_lo, exec_lo, s8
                                        ; implicit-def: $vgpr6
.LBB9_60:
	s_andn2_saveexec_b32 s7, s7
; %bb.61:
	v_mov_b32_e32 v3, 0x7f
	v_cmp_lt_u32_e32 vcc_lo, 0x7f800000, v6
	v_cndmask_b32_e32 v3, 0x7e, v3, vcc_lo
; %bb.62:
	s_or_b32 exec_lo, exec_lo, s7
	v_lshrrev_b32_e32 v2, 24, v2
	v_and_or_b32 v2, 0x80, v2, v3
	global_store_byte v[4:5], v2, off
.LBB9_63:
	s_mov_b32 s7, 0
.LBB9_64:
	s_andn2_b32 vcc_lo, exec_lo, s7
	s_cbranch_vccnz .LBB9_74
; %bb.65:
	v_cvt_f32_f64_e32 v2, v[0:1]
	s_mov_b32 s7, exec_lo
                                        ; implicit-def: $vgpr3
	v_and_b32_e32 v6, 0x7fffffff, v2
	v_cmpx_gt_u32_e32 0x47800000, v6
	s_xor_b32 s7, exec_lo, s7
	s_cbranch_execz .LBB9_71
; %bb.66:
	s_mov_b32 s8, exec_lo
                                        ; implicit-def: $vgpr3
	v_cmpx_lt_u32_e32 0x387fffff, v6
	s_xor_b32 s8, exec_lo, s8
; %bb.67:
	v_bfe_u32 v3, v2, 21, 1
	v_add3_u32 v3, v2, v3, 0x80fffff
	v_lshrrev_b32_e32 v3, 21, v3
; %bb.68:
	s_andn2_saveexec_b32 s8, s8
; %bb.69:
	v_add_f32_e64 v3, 0x43000000, |v2|
; %bb.70:
	s_or_b32 exec_lo, exec_lo, s8
                                        ; implicit-def: $vgpr6
.LBB9_71:
	s_andn2_saveexec_b32 s7, s7
; %bb.72:
	v_mov_b32_e32 v3, 0x7f
	v_cmp_lt_u32_e32 vcc_lo, 0x7f800000, v6
	v_cndmask_b32_e32 v3, 0x7c, v3, vcc_lo
; %bb.73:
	s_or_b32 exec_lo, exec_lo, s7
	v_lshrrev_b32_e32 v2, 24, v2
	v_and_or_b32 v2, 0x80, v2, v3
	global_store_byte v[4:5], v2, off
.LBB9_74:
	s_mov_b32 s8, 0
	s_mov_b32 s7, -1
.LBB9_75:
	s_andn2_b32 vcc_lo, exec_lo, s8
	s_cbranch_vccnz .LBB9_83
; %bb.76:
	s_cmp_gt_i32 s6, 14
	s_mov_b32 s8, -1
	s_cbranch_scc0 .LBB9_80
; %bb.77:
	s_cmp_eq_u32 s6, 15
	s_mov_b32 s4, -1
	s_cbranch_scc0 .LBB9_79
; %bb.78:
	v_cvt_f32_f64_e32 v2, v[0:1]
	s_mov_b32 s7, -1
	s_mov_b32 s4, 0
	v_bfe_u32 v3, v2, 16, 1
	v_cmp_o_f32_e32 vcc_lo, v2, v2
	v_add3_u32 v2, v2, v3, 0x7fff
	v_mov_b32_e32 v3, 0x7fc0
	v_cndmask_b32_sdwa v2, v3, v2, vcc_lo dst_sel:DWORD dst_unused:UNUSED_PAD src0_sel:DWORD src1_sel:WORD_1
	global_store_short v[4:5], v2, off
.LBB9_79:
	s_mov_b32 s8, 0
.LBB9_80:
	s_and_b32 vcc_lo, exec_lo, s8
	s_cbranch_vccz .LBB9_83
; %bb.81:
	s_cmp_eq_u32 s6, 11
	s_mov_b32 s4, -1
	s_cbranch_scc0 .LBB9_83
; %bb.82:
	v_cmp_neq_f64_e32 vcc_lo, 0, v[0:1]
	s_mov_b32 s7, -1
	s_mov_b32 s4, 0
	v_cndmask_b32_e64 v2, 0, 1, vcc_lo
	global_store_byte v[4:5], v2, off
.LBB9_83:
	s_branch .LBB9_10
.LBB9_84:
	s_and_b32 s5, 0xffff, s5
	s_mov_b32 s6, -1
	s_cmp_lt_i32 s5, 5
	s_cbranch_scc1 .LBB9_105
; %bb.85:
	s_cmp_lt_i32 s5, 8
	s_cbranch_scc1 .LBB9_95
; %bb.86:
	;; [unrolled: 3-line block ×3, first 2 shown]
	s_cmp_gt_i32 s5, 9
	s_cbranch_scc0 .LBB9_89
; %bb.88:
	v_mov_b32_e32 v2, 0
	s_mov_b32 s6, 0
	v_mov_b32_e32 v3, v2
	global_store_dwordx4 v[4:5], v[0:3], off
.LBB9_89:
	s_andn2_b32 vcc_lo, exec_lo, s6
	s_cbranch_vccnz .LBB9_91
; %bb.90:
	v_cvt_f32_f64_e32 v2, v[0:1]
	v_mov_b32_e32 v3, 0
	global_store_dwordx2 v[4:5], v[2:3], off
.LBB9_91:
	s_mov_b32 s6, 0
.LBB9_92:
	s_andn2_b32 vcc_lo, exec_lo, s6
	s_cbranch_vccnz .LBB9_94
; %bb.93:
	v_and_or_b32 v2, 0x1ff, v1, v0
	v_lshrrev_b32_e32 v3, 8, v1
	v_bfe_u32 v6, v1, 20, 11
	v_cmp_ne_u32_e32 vcc_lo, 0, v2
	v_sub_nc_u32_e32 v7, 0x3f1, v6
	v_add_nc_u32_e32 v6, 0xfffffc10, v6
	v_cndmask_b32_e64 v2, 0, 1, vcc_lo
	v_and_or_b32 v2, 0xffe, v3, v2
	v_med3_i32 v3, v7, 0, 13
	v_or_b32_e32 v7, 0x1000, v2
	v_lshrrev_b32_e32 v8, v3, v7
	v_lshlrev_b32_e32 v3, v3, v8
	v_cmp_ne_u32_e32 vcc_lo, v3, v7
	v_lshl_or_b32 v7, v6, 12, v2
	v_cndmask_b32_e64 v3, 0, 1, vcc_lo
	v_cmp_gt_i32_e32 vcc_lo, 1, v6
	v_or_b32_e32 v3, v8, v3
	v_cndmask_b32_e32 v3, v7, v3, vcc_lo
	v_and_b32_e32 v7, 7, v3
	v_lshrrev_b32_e32 v3, 2, v3
	v_cmp_lt_i32_e32 vcc_lo, 5, v7
	v_cndmask_b32_e64 v8, 0, 1, vcc_lo
	v_cmp_eq_u32_e32 vcc_lo, 3, v7
	v_cndmask_b32_e64 v7, 0, 1, vcc_lo
	v_cmp_ne_u32_e32 vcc_lo, 0, v2
	v_or_b32_e32 v7, v7, v8
	v_mov_b32_e32 v8, 0x7e00
	v_add_nc_u32_e32 v3, v3, v7
	v_cndmask_b32_e32 v2, 0x7c00, v8, vcc_lo
	v_cmp_gt_i32_e32 vcc_lo, 31, v6
	v_cndmask_b32_e32 v3, 0x7c00, v3, vcc_lo
	v_cmp_eq_u32_e32 vcc_lo, 0x40f, v6
	v_cndmask_b32_e32 v2, v3, v2, vcc_lo
	v_lshrrev_b32_e32 v3, 16, v1
	v_and_or_b32 v2, 0x8000, v3, v2
	v_and_b32_e32 v2, 0xffff, v2
	global_store_dword v[4:5], v2, off
.LBB9_94:
	s_mov_b32 s6, 0
.LBB9_95:
	s_andn2_b32 vcc_lo, exec_lo, s6
	s_cbranch_vccnz .LBB9_104
; %bb.96:
	s_cmp_lt_i32 s5, 6
	s_mov_b32 s6, -1
	s_cbranch_scc1 .LBB9_102
; %bb.97:
	s_cmp_gt_i32 s5, 6
	s_cbranch_scc0 .LBB9_99
; %bb.98:
	s_mov_b32 s6, 0
	global_store_dwordx2 v[4:5], v[0:1], off
.LBB9_99:
	s_andn2_b32 vcc_lo, exec_lo, s6
	s_cbranch_vccnz .LBB9_101
; %bb.100:
	v_cvt_f32_f64_e32 v2, v[0:1]
	global_store_dword v[4:5], v2, off
.LBB9_101:
	s_mov_b32 s6, 0
.LBB9_102:
	s_andn2_b32 vcc_lo, exec_lo, s6
	s_cbranch_vccnz .LBB9_104
; %bb.103:
	v_and_or_b32 v2, 0x1ff, v1, v0
	v_lshrrev_b32_e32 v3, 8, v1
	v_bfe_u32 v6, v1, 20, 11
	v_cmp_ne_u32_e32 vcc_lo, 0, v2
	v_sub_nc_u32_e32 v7, 0x3f1, v6
	v_add_nc_u32_e32 v6, 0xfffffc10, v6
	v_cndmask_b32_e64 v2, 0, 1, vcc_lo
	v_and_or_b32 v2, 0xffe, v3, v2
	v_med3_i32 v3, v7, 0, 13
	v_or_b32_e32 v7, 0x1000, v2
	v_lshrrev_b32_e32 v8, v3, v7
	v_lshlrev_b32_e32 v3, v3, v8
	v_cmp_ne_u32_e32 vcc_lo, v3, v7
	v_lshl_or_b32 v7, v6, 12, v2
	v_cndmask_b32_e64 v3, 0, 1, vcc_lo
	v_cmp_gt_i32_e32 vcc_lo, 1, v6
	v_or_b32_e32 v3, v8, v3
	v_cndmask_b32_e32 v3, v7, v3, vcc_lo
	v_and_b32_e32 v7, 7, v3
	v_lshrrev_b32_e32 v3, 2, v3
	v_cmp_lt_i32_e32 vcc_lo, 5, v7
	v_cndmask_b32_e64 v8, 0, 1, vcc_lo
	v_cmp_eq_u32_e32 vcc_lo, 3, v7
	v_cndmask_b32_e64 v7, 0, 1, vcc_lo
	v_cmp_ne_u32_e32 vcc_lo, 0, v2
	v_or_b32_e32 v7, v7, v8
	v_mov_b32_e32 v8, 0x7e00
	v_add_nc_u32_e32 v3, v3, v7
	v_cndmask_b32_e32 v2, 0x7c00, v8, vcc_lo
	v_cmp_gt_i32_e32 vcc_lo, 31, v6
	v_cndmask_b32_e32 v3, 0x7c00, v3, vcc_lo
	v_cmp_eq_u32_e32 vcc_lo, 0x40f, v6
	v_cndmask_b32_e32 v2, v3, v2, vcc_lo
	v_lshrrev_b32_e32 v3, 16, v1
	v_and_or_b32 v2, 0x8000, v3, v2
	global_store_short v[4:5], v2, off
.LBB9_104:
	s_mov_b32 s6, 0
.LBB9_105:
	s_andn2_b32 vcc_lo, exec_lo, s6
	s_cbranch_vccnz .LBB9_121
; %bb.106:
	s_cmp_lt_i32 s5, 2
	s_mov_b32 s6, -1
	s_cbranch_scc1 .LBB9_116
; %bb.107:
	s_cmp_lt_i32 s5, 3
	s_cbranch_scc1 .LBB9_113
; %bb.108:
	s_cmp_gt_i32 s5, 3
	s_cbranch_scc0 .LBB9_110
; %bb.109:
	v_trunc_f64_e32 v[2:3], v[0:1]
	s_mov_b32 s6, 0
	v_ldexp_f64 v[6:7], v[2:3], 0xffffffe0
	v_floor_f64_e32 v[6:7], v[6:7]
	v_fma_f64 v[2:3], 0xc1f00000, v[6:7], v[2:3]
	v_cvt_i32_f64_e32 v7, v[6:7]
	v_cvt_u32_f64_e32 v6, v[2:3]
	global_store_dwordx2 v[4:5], v[6:7], off
.LBB9_110:
	s_andn2_b32 vcc_lo, exec_lo, s6
	s_cbranch_vccnz .LBB9_112
; %bb.111:
	v_cvt_i32_f64_e32 v2, v[0:1]
	global_store_dword v[4:5], v2, off
.LBB9_112:
	s_mov_b32 s6, 0
.LBB9_113:
	s_andn2_b32 vcc_lo, exec_lo, s6
	s_cbranch_vccnz .LBB9_115
; %bb.114:
	v_cvt_i32_f64_e32 v2, v[0:1]
	global_store_short v[4:5], v2, off
.LBB9_115:
	s_mov_b32 s6, 0
.LBB9_116:
	s_andn2_b32 vcc_lo, exec_lo, s6
	s_cbranch_vccnz .LBB9_121
; %bb.117:
	s_cmp_gt_i32 s5, 0
	s_mov_b32 s5, -1
	s_cbranch_scc0 .LBB9_119
; %bb.118:
	v_cvt_i32_f64_e32 v2, v[0:1]
	s_mov_b32 s5, 0
	global_store_byte v[4:5], v2, off
.LBB9_119:
	s_andn2_b32 vcc_lo, exec_lo, s5
	s_cbranch_vccnz .LBB9_121
; %bb.120:
	v_trunc_f64_e32 v[0:1], v[0:1]
	v_ldexp_f64 v[2:3], v[0:1], 0xffffffe0
	v_floor_f64_e32 v[2:3], v[2:3]
	v_fma_f64 v[0:1], 0xc1f00000, v[2:3], v[0:1]
	v_cvt_u32_f64_e32 v0, v[0:1]
	global_store_byte v[4:5], v0, off
.LBB9_121:
	s_branch .LBB9_11
.LBB9_122:
	s_mov_b32 s5, 0
                                        ; implicit-def: $vgpr46
.LBB9_123:
	s_and_b32 s34, s4, exec_lo
	s_orn2_b32 s4, s5, exec_lo
.LBB9_124:
	s_or_b32 exec_lo, exec_lo, s40
	s_mov_b32 s6, 0
                                        ; implicit-def: $sgpr5
                                        ; implicit-def: $vgpr4_vgpr5
                                        ; implicit-def: $vgpr0_vgpr1
	s_and_saveexec_b32 s40, s4
	s_cbranch_execz .LBB9_133
; %bb.125:
	s_mov_b32 s7, -1
	s_mov_b32 s41, s34
	s_mov_b32 s42, exec_lo
	v_cmpx_gt_i32_e64 s35, v46
	s_cbranch_execz .LBB9_256
; %bb.126:
	v_mov_b32_e32 v0, s38
	v_mov_b32_e32 v1, s39
	;; [unrolled: 1-line block ×5, first 2 shown]
	s_getpc_b64 s[4:5]
	s_add_u32 s4, s4, _ZN2at6native6invokeIZZZNS0_12_GLOBAL__N_121bessel_y1_kernel_cudaERNS_18TensorIteratorBaseEENKUlvE_clEvENKUlvE_clEvEUldE_i15function_traitsIS7_EEENT1_11result_typeERKT_PrKPcPKT0_PKN3c1010ScalarTypeEi@rel32@lo+4
	s_addc_u32 s5, s5, _ZN2at6native6invokeIZZZNS0_12_GLOBAL__N_121bessel_y1_kernel_cudaERNS_18TensorIteratorBaseEENKUlvE_clEvENKUlvE_clEvEUldE_i15function_traitsIS7_EEENT1_11result_typeERKT_PrKPcPKT0_PKN3c1010ScalarTypeEi@rel32@hi+12
	s_swappc_b64 s[30:31], s[4:5]
	v_mul_lo_u32 v2, v46, s26
	s_and_b32 s5, s28, 0xff
	s_cmp_lt_i32 s5, 11
	v_ashrrev_i32_e32 v3, 31, v2
	v_add_co_u32 v4, vcc_lo, s36, v2
	v_add_co_ci_u32_e64 v5, null, s37, v3, vcc_lo
	s_cbranch_scc1 .LBB9_136
; %bb.127:
	s_and_b32 s6, 0xffff, s5
	s_cmp_gt_i32 s6, 25
	s_cbranch_scc0 .LBB9_139
; %bb.128:
	s_cmp_gt_i32 s6, 28
	s_cbranch_scc0 .LBB9_140
; %bb.129:
	s_cmp_gt_i32 s6, 43
	s_cbranch_scc0 .LBB9_143
; %bb.130:
	s_cmp_gt_i32 s6, 45
	s_cbranch_scc0 .LBB9_146
; %bb.131:
	s_mov_b32 s8, 0
	s_mov_b32 s4, -1
	s_cmp_eq_u32 s6, 46
	s_mov_b32 s7, 0
	s_cbranch_scc0 .LBB9_147
; %bb.132:
	v_cvt_f32_f64_e32 v2, v[0:1]
	s_mov_b32 s7, -1
	s_mov_b32 s4, 0
	v_bfe_u32 v3, v2, 16, 1
	v_cmp_o_f32_e32 vcc_lo, v2, v2
	v_add3_u32 v2, v2, v3, 0x7fff
	v_mov_b32_e32 v3, 0x7fc0
	v_cndmask_b32_sdwa v2, v3, v2, vcc_lo dst_sel:DWORD dst_unused:UNUSED_PAD src0_sel:DWORD src1_sel:WORD_1
	global_store_dword v[4:5], v2, off
	s_branch .LBB9_147
.LBB9_133:
	s_or_b32 exec_lo, exec_lo, s40
	s_mov_b32 s4, 0
	s_and_saveexec_b32 s7, s34
	s_cbranch_execnz .LBB9_472
.LBB9_134:
	s_or_b32 exec_lo, exec_lo, s7
	s_and_saveexec_b32 s7, s41
	s_xor_b32 s7, exec_lo, s7
	s_cbranch_execz .LBB9_473
.LBB9_135:
	v_cmp_neq_f64_e32 vcc_lo, 0, v[0:1]
	v_cndmask_b32_e64 v2, 0, 1, vcc_lo
	global_store_byte v[4:5], v2, off
	s_or_b32 exec_lo, exec_lo, s7
	s_and_saveexec_b32 s7, s6
	s_xor_b32 s6, exec_lo, s7
	s_cbranch_execz .LBB9_511
	s_branch .LBB9_474
.LBB9_136:
	s_mov_b32 s7, 0
	s_mov_b32 s4, s34
	s_cbranch_execnz .LBB9_216
.LBB9_137:
	s_andn2_b32 vcc_lo, exec_lo, s7
	s_cbranch_vccnz .LBB9_254
.LBB9_138:
	v_add_nc_u32_e32 v46, 0x80, v46
	s_mov_b32 s5, -1
	s_branch .LBB9_255
.LBB9_139:
	s_mov_b32 s8, -1
	s_mov_b32 s7, 0
	s_mov_b32 s4, s34
	s_branch .LBB9_174
.LBB9_140:
	s_mov_b32 s8, -1
	s_mov_b32 s7, 0
	s_mov_b32 s4, s34
	s_branch .LBB9_157
.LBB9_141:
	s_andn2_saveexec_b32 s9, s9
	s_cbranch_execz .LBB9_37
.LBB9_142:
	v_add_f32_e64 v3, 0x46000000, |v2|
	s_andn2_b32 s8, s8, exec_lo
	v_and_b32_e32 v3, 0xff, v3
	v_cmp_ne_u32_e32 vcc_lo, 0, v3
	s_and_b32 s10, vcc_lo, exec_lo
	s_or_b32 s8, s8, s10
	s_or_b32 exec_lo, exec_lo, s9
	v_mov_b32_e32 v6, 0
	s_and_saveexec_b32 s9, s8
	s_cbranch_execnz .LBB9_38
	s_branch .LBB9_39
.LBB9_143:
	s_mov_b32 s8, -1
	s_mov_b32 s7, 0
	s_mov_b32 s4, s34
	s_branch .LBB9_153
.LBB9_144:
	s_andn2_saveexec_b32 s9, s9
	s_cbranch_execz .LBB9_49
.LBB9_145:
	v_add_f32_e64 v3, 0x42800000, |v2|
	s_andn2_b32 s8, s8, exec_lo
	v_and_b32_e32 v3, 0xff, v3
	v_cmp_ne_u32_e32 vcc_lo, 0, v3
	s_and_b32 s10, vcc_lo, exec_lo
	s_or_b32 s8, s8, s10
	s_or_b32 exec_lo, exec_lo, s9
	v_mov_b32_e32 v6, 0
	s_and_saveexec_b32 s9, s8
	s_cbranch_execnz .LBB9_50
	s_branch .LBB9_51
.LBB9_146:
	s_mov_b32 s8, -1
	s_mov_b32 s7, 0
	s_mov_b32 s4, s34
.LBB9_147:
	s_and_b32 vcc_lo, exec_lo, s8
	s_cbranch_vccz .LBB9_152
; %bb.148:
	s_cmp_eq_u32 s6, 44
	s_mov_b32 s4, -1
	s_cbranch_scc0 .LBB9_152
; %bb.149:
	v_cvt_f32_f64_e32 v2, v[0:1]
	v_mov_b32_e32 v3, 0xff
	s_mov_b32 s7, exec_lo
	v_bfe_u32 v6, v2, 23, 8
	v_cmpx_ne_u32_e32 0xff, v6
	s_cbranch_execz .LBB9_151
; %bb.150:
	v_and_b32_e32 v3, 0x400000, v2
	v_and_or_b32 v6, 0x3fffff, v2, v6
	v_lshrrev_b32_e32 v2, 23, v2
	v_cmp_ne_u32_e32 vcc_lo, 0, v3
	v_cmp_ne_u32_e64 s4, 0, v6
	s_and_b32 s4, vcc_lo, s4
	v_cndmask_b32_e64 v3, 0, 1, s4
	v_add_nc_u32_e32 v3, v2, v3
.LBB9_151:
	s_or_b32 exec_lo, exec_lo, s7
	s_mov_b32 s7, -1
	s_mov_b32 s4, 0
	global_store_byte v[4:5], v3, off
.LBB9_152:
	s_mov_b32 s8, 0
.LBB9_153:
	s_and_b32 vcc_lo, exec_lo, s8
	s_cbranch_vccz .LBB9_156
; %bb.154:
	s_cmp_eq_u32 s6, 29
	s_mov_b32 s4, -1
	s_cbranch_scc0 .LBB9_156
; %bb.155:
	v_trunc_f64_e32 v[2:3], v[0:1]
	s_mov_b32 s7, -1
	s_mov_b32 s4, 0
	s_mov_b32 s8, 0
	v_ldexp_f64 v[6:7], v[2:3], 0xffffffe0
	v_floor_f64_e32 v[6:7], v[6:7]
	v_fma_f64 v[2:3], 0xc1f00000, v[6:7], v[2:3]
	v_cvt_u32_f64_e32 v7, v[6:7]
	v_cvt_u32_f64_e32 v6, v[2:3]
	global_store_dwordx2 v[4:5], v[6:7], off
	s_branch .LBB9_157
.LBB9_156:
	s_mov_b32 s8, 0
.LBB9_157:
	s_and_b32 vcc_lo, exec_lo, s8
	s_cbranch_vccz .LBB9_173
; %bb.158:
	s_cmp_lt_i32 s6, 27
	s_mov_b32 s7, -1
	s_cbranch_scc1 .LBB9_164
; %bb.159:
	v_cvt_u32_f64_e32 v2, v[0:1]
	s_cmp_gt_i32 s6, 27
	s_cbranch_scc0 .LBB9_161
; %bb.160:
	s_mov_b32 s7, 0
	global_store_dword v[4:5], v2, off
.LBB9_161:
	s_andn2_b32 vcc_lo, exec_lo, s7
	s_cbranch_vccnz .LBB9_163
; %bb.162:
	global_store_short v[4:5], v2, off
.LBB9_163:
	s_mov_b32 s7, 0
.LBB9_164:
	s_andn2_b32 vcc_lo, exec_lo, s7
	s_cbranch_vccnz .LBB9_172
; %bb.165:
	v_cvt_f32_f64_e32 v2, v[0:1]
	v_mov_b32_e32 v6, 0x80
	s_mov_b32 s7, exec_lo
	v_and_b32_e32 v3, 0x7fffffff, v2
	v_cmpx_gt_u32_e32 0x43800000, v3
	s_cbranch_execz .LBB9_171
; %bb.166:
	v_cmp_lt_u32_e32 vcc_lo, 0x3bffffff, v3
	s_mov_b32 s8, 0
                                        ; implicit-def: $vgpr3
	s_and_saveexec_b32 s9, vcc_lo
	s_xor_b32 s9, exec_lo, s9
	s_cbranch_execz .LBB9_268
; %bb.167:
	v_bfe_u32 v3, v2, 20, 1
	s_mov_b32 s8, exec_lo
	v_add3_u32 v3, v2, v3, 0x487ffff
	v_lshrrev_b32_e32 v3, 20, v3
	s_andn2_saveexec_b32 s9, s9
	s_cbranch_execnz .LBB9_269
.LBB9_168:
	s_or_b32 exec_lo, exec_lo, s9
	v_mov_b32_e32 v6, 0
	s_and_saveexec_b32 s9, s8
.LBB9_169:
	v_lshrrev_b32_e32 v2, 24, v2
	v_and_or_b32 v6, 0x80, v2, v3
.LBB9_170:
	s_or_b32 exec_lo, exec_lo, s9
.LBB9_171:
	s_or_b32 exec_lo, exec_lo, s7
	global_store_byte v[4:5], v6, off
.LBB9_172:
	s_mov_b32 s7, -1
.LBB9_173:
	s_mov_b32 s8, 0
.LBB9_174:
	s_and_b32 vcc_lo, exec_lo, s8
	s_cbranch_vccz .LBB9_215
; %bb.175:
	s_cmp_gt_i32 s6, 22
	s_mov_b32 s8, -1
	s_cbranch_scc0 .LBB9_207
; %bb.176:
	s_cmp_lt_i32 s6, 24
	s_mov_b32 s7, -1
	s_cbranch_scc1 .LBB9_196
; %bb.177:
	s_cmp_gt_i32 s6, 24
	s_cbranch_scc0 .LBB9_185
; %bb.178:
	v_cvt_f32_f64_e32 v2, v[0:1]
	v_mov_b32_e32 v6, 0x80
	s_mov_b32 s7, exec_lo
	v_and_b32_e32 v3, 0x7fffffff, v2
	v_cmpx_gt_u32_e32 0x47800000, v3
	s_cbranch_execz .LBB9_184
; %bb.179:
	v_cmp_lt_u32_e32 vcc_lo, 0x37ffffff, v3
	s_mov_b32 s8, 0
                                        ; implicit-def: $vgpr3
	s_and_saveexec_b32 s9, vcc_lo
	s_xor_b32 s9, exec_lo, s9
	s_cbranch_execz .LBB9_271
; %bb.180:
	v_bfe_u32 v3, v2, 21, 1
	s_mov_b32 s8, exec_lo
	v_add3_u32 v3, v2, v3, 0x88fffff
	v_lshrrev_b32_e32 v3, 21, v3
	s_andn2_saveexec_b32 s9, s9
	s_cbranch_execnz .LBB9_272
.LBB9_181:
	s_or_b32 exec_lo, exec_lo, s9
	v_mov_b32_e32 v6, 0
	s_and_saveexec_b32 s9, s8
.LBB9_182:
	v_lshrrev_b32_e32 v2, 24, v2
	v_and_or_b32 v6, 0x80, v2, v3
.LBB9_183:
	s_or_b32 exec_lo, exec_lo, s9
.LBB9_184:
	s_or_b32 exec_lo, exec_lo, s7
	s_mov_b32 s7, 0
	global_store_byte v[4:5], v6, off
.LBB9_185:
	s_and_b32 vcc_lo, exec_lo, s7
	s_cbranch_vccz .LBB9_195
; %bb.186:
	v_cvt_f32_f64_e32 v2, v[0:1]
	s_mov_b32 s7, exec_lo
                                        ; implicit-def: $vgpr3
	v_and_b32_e32 v6, 0x7fffffff, v2
	v_cmpx_gt_u32_e32 0x43f00000, v6
	s_xor_b32 s7, exec_lo, s7
	s_cbranch_execz .LBB9_192
; %bb.187:
	s_mov_b32 s8, exec_lo
                                        ; implicit-def: $vgpr3
	v_cmpx_lt_u32_e32 0x3c7fffff, v6
	s_xor_b32 s8, exec_lo, s8
; %bb.188:
	v_bfe_u32 v3, v2, 20, 1
	v_add3_u32 v3, v2, v3, 0x407ffff
	v_and_b32_e32 v6, 0xff00000, v3
	v_lshrrev_b32_e32 v3, 20, v3
	v_cmp_ne_u32_e32 vcc_lo, 0x7f00000, v6
	v_cndmask_b32_e32 v3, 0x7e, v3, vcc_lo
; %bb.189:
	s_andn2_saveexec_b32 s8, s8
; %bb.190:
	v_add_f32_e64 v3, 0x46800000, |v2|
; %bb.191:
	s_or_b32 exec_lo, exec_lo, s8
                                        ; implicit-def: $vgpr6
.LBB9_192:
	s_andn2_saveexec_b32 s7, s7
; %bb.193:
	v_mov_b32_e32 v3, 0x7f
	v_cmp_lt_u32_e32 vcc_lo, 0x7f800000, v6
	v_cndmask_b32_e32 v3, 0x7e, v3, vcc_lo
; %bb.194:
	s_or_b32 exec_lo, exec_lo, s7
	v_lshrrev_b32_e32 v2, 24, v2
	v_and_or_b32 v2, 0x80, v2, v3
	global_store_byte v[4:5], v2, off
.LBB9_195:
	s_mov_b32 s7, 0
.LBB9_196:
	s_andn2_b32 vcc_lo, exec_lo, s7
	s_cbranch_vccnz .LBB9_206
; %bb.197:
	v_cvt_f32_f64_e32 v2, v[0:1]
	s_mov_b32 s7, exec_lo
                                        ; implicit-def: $vgpr3
	v_and_b32_e32 v6, 0x7fffffff, v2
	v_cmpx_gt_u32_e32 0x47800000, v6
	s_xor_b32 s7, exec_lo, s7
	s_cbranch_execz .LBB9_203
; %bb.198:
	s_mov_b32 s8, exec_lo
                                        ; implicit-def: $vgpr3
	v_cmpx_lt_u32_e32 0x387fffff, v6
	s_xor_b32 s8, exec_lo, s8
; %bb.199:
	v_bfe_u32 v3, v2, 21, 1
	v_add3_u32 v3, v2, v3, 0x80fffff
	v_lshrrev_b32_e32 v3, 21, v3
; %bb.200:
	s_andn2_saveexec_b32 s8, s8
; %bb.201:
	v_add_f32_e64 v3, 0x43000000, |v2|
; %bb.202:
	s_or_b32 exec_lo, exec_lo, s8
                                        ; implicit-def: $vgpr6
.LBB9_203:
	s_andn2_saveexec_b32 s7, s7
; %bb.204:
	v_mov_b32_e32 v3, 0x7f
	v_cmp_lt_u32_e32 vcc_lo, 0x7f800000, v6
	v_cndmask_b32_e32 v3, 0x7c, v3, vcc_lo
; %bb.205:
	s_or_b32 exec_lo, exec_lo, s7
	v_lshrrev_b32_e32 v2, 24, v2
	v_and_or_b32 v2, 0x80, v2, v3
	global_store_byte v[4:5], v2, off
.LBB9_206:
	s_mov_b32 s8, 0
	s_mov_b32 s7, -1
.LBB9_207:
	s_andn2_b32 vcc_lo, exec_lo, s8
	s_cbranch_vccnz .LBB9_215
; %bb.208:
	s_cmp_gt_i32 s6, 14
	s_mov_b32 s8, -1
	s_cbranch_scc0 .LBB9_212
; %bb.209:
	s_cmp_eq_u32 s6, 15
	s_mov_b32 s4, -1
	s_cbranch_scc0 .LBB9_211
; %bb.210:
	v_cvt_f32_f64_e32 v2, v[0:1]
	s_mov_b32 s7, -1
	s_mov_b32 s4, 0
	v_bfe_u32 v3, v2, 16, 1
	v_cmp_o_f32_e32 vcc_lo, v2, v2
	v_add3_u32 v2, v2, v3, 0x7fff
	v_mov_b32_e32 v3, 0x7fc0
	v_cndmask_b32_sdwa v2, v3, v2, vcc_lo dst_sel:DWORD dst_unused:UNUSED_PAD src0_sel:DWORD src1_sel:WORD_1
	global_store_short v[4:5], v2, off
.LBB9_211:
	s_mov_b32 s8, 0
.LBB9_212:
	s_and_b32 vcc_lo, exec_lo, s8
	s_cbranch_vccz .LBB9_215
; %bb.213:
	s_cmp_eq_u32 s6, 11
	s_mov_b32 s4, -1
	s_cbranch_scc0 .LBB9_215
; %bb.214:
	v_cmp_neq_f64_e32 vcc_lo, 0, v[0:1]
	s_mov_b32 s7, -1
	s_mov_b32 s4, 0
	v_cndmask_b32_e64 v2, 0, 1, vcc_lo
	global_store_byte v[4:5], v2, off
.LBB9_215:
	s_branch .LBB9_137
.LBB9_216:
	s_and_b32 s5, 0xffff, s5
	s_mov_b32 s6, -1
	s_cmp_lt_i32 s5, 5
	s_cbranch_scc1 .LBB9_237
; %bb.217:
	s_cmp_lt_i32 s5, 8
	s_cbranch_scc1 .LBB9_227
; %bb.218:
	;; [unrolled: 3-line block ×3, first 2 shown]
	s_cmp_gt_i32 s5, 9
	s_cbranch_scc0 .LBB9_221
; %bb.220:
	v_mov_b32_e32 v2, 0
	s_mov_b32 s6, 0
	v_mov_b32_e32 v3, v2
	global_store_dwordx4 v[4:5], v[0:3], off
.LBB9_221:
	s_andn2_b32 vcc_lo, exec_lo, s6
	s_cbranch_vccnz .LBB9_223
; %bb.222:
	v_cvt_f32_f64_e32 v2, v[0:1]
	v_mov_b32_e32 v3, 0
	global_store_dwordx2 v[4:5], v[2:3], off
.LBB9_223:
	s_mov_b32 s6, 0
.LBB9_224:
	s_andn2_b32 vcc_lo, exec_lo, s6
	s_cbranch_vccnz .LBB9_226
; %bb.225:
	v_and_or_b32 v2, 0x1ff, v1, v0
	v_lshrrev_b32_e32 v3, 8, v1
	v_bfe_u32 v6, v1, 20, 11
	v_cmp_ne_u32_e32 vcc_lo, 0, v2
	v_sub_nc_u32_e32 v7, 0x3f1, v6
	v_add_nc_u32_e32 v6, 0xfffffc10, v6
	v_cndmask_b32_e64 v2, 0, 1, vcc_lo
	v_and_or_b32 v2, 0xffe, v3, v2
	v_med3_i32 v3, v7, 0, 13
	v_or_b32_e32 v7, 0x1000, v2
	v_lshrrev_b32_e32 v8, v3, v7
	v_lshlrev_b32_e32 v3, v3, v8
	v_cmp_ne_u32_e32 vcc_lo, v3, v7
	v_lshl_or_b32 v7, v6, 12, v2
	v_cndmask_b32_e64 v3, 0, 1, vcc_lo
	v_cmp_gt_i32_e32 vcc_lo, 1, v6
	v_or_b32_e32 v3, v8, v3
	v_cndmask_b32_e32 v3, v7, v3, vcc_lo
	v_and_b32_e32 v7, 7, v3
	v_lshrrev_b32_e32 v3, 2, v3
	v_cmp_lt_i32_e32 vcc_lo, 5, v7
	v_cndmask_b32_e64 v8, 0, 1, vcc_lo
	v_cmp_eq_u32_e32 vcc_lo, 3, v7
	v_cndmask_b32_e64 v7, 0, 1, vcc_lo
	v_cmp_ne_u32_e32 vcc_lo, 0, v2
	v_or_b32_e32 v7, v7, v8
	v_mov_b32_e32 v8, 0x7e00
	v_add_nc_u32_e32 v3, v3, v7
	v_cndmask_b32_e32 v2, 0x7c00, v8, vcc_lo
	v_cmp_gt_i32_e32 vcc_lo, 31, v6
	v_cndmask_b32_e32 v3, 0x7c00, v3, vcc_lo
	v_cmp_eq_u32_e32 vcc_lo, 0x40f, v6
	v_cndmask_b32_e32 v2, v3, v2, vcc_lo
	v_lshrrev_b32_e32 v3, 16, v1
	v_and_or_b32 v2, 0x8000, v3, v2
	v_and_b32_e32 v2, 0xffff, v2
	global_store_dword v[4:5], v2, off
.LBB9_226:
	s_mov_b32 s6, 0
.LBB9_227:
	s_andn2_b32 vcc_lo, exec_lo, s6
	s_cbranch_vccnz .LBB9_236
; %bb.228:
	s_cmp_lt_i32 s5, 6
	s_mov_b32 s6, -1
	s_cbranch_scc1 .LBB9_234
; %bb.229:
	s_cmp_gt_i32 s5, 6
	s_cbranch_scc0 .LBB9_231
; %bb.230:
	s_mov_b32 s6, 0
	global_store_dwordx2 v[4:5], v[0:1], off
.LBB9_231:
	s_andn2_b32 vcc_lo, exec_lo, s6
	s_cbranch_vccnz .LBB9_233
; %bb.232:
	v_cvt_f32_f64_e32 v2, v[0:1]
	global_store_dword v[4:5], v2, off
.LBB9_233:
	s_mov_b32 s6, 0
.LBB9_234:
	s_andn2_b32 vcc_lo, exec_lo, s6
	s_cbranch_vccnz .LBB9_236
; %bb.235:
	v_and_or_b32 v2, 0x1ff, v1, v0
	v_lshrrev_b32_e32 v3, 8, v1
	v_bfe_u32 v6, v1, 20, 11
	v_cmp_ne_u32_e32 vcc_lo, 0, v2
	v_sub_nc_u32_e32 v7, 0x3f1, v6
	v_add_nc_u32_e32 v6, 0xfffffc10, v6
	v_cndmask_b32_e64 v2, 0, 1, vcc_lo
	v_and_or_b32 v2, 0xffe, v3, v2
	v_med3_i32 v3, v7, 0, 13
	v_or_b32_e32 v7, 0x1000, v2
	v_lshrrev_b32_e32 v8, v3, v7
	v_lshlrev_b32_e32 v3, v3, v8
	v_cmp_ne_u32_e32 vcc_lo, v3, v7
	v_lshl_or_b32 v7, v6, 12, v2
	v_cndmask_b32_e64 v3, 0, 1, vcc_lo
	v_cmp_gt_i32_e32 vcc_lo, 1, v6
	v_or_b32_e32 v3, v8, v3
	v_cndmask_b32_e32 v3, v7, v3, vcc_lo
	v_and_b32_e32 v7, 7, v3
	v_lshrrev_b32_e32 v3, 2, v3
	v_cmp_lt_i32_e32 vcc_lo, 5, v7
	v_cndmask_b32_e64 v8, 0, 1, vcc_lo
	v_cmp_eq_u32_e32 vcc_lo, 3, v7
	v_cndmask_b32_e64 v7, 0, 1, vcc_lo
	v_cmp_ne_u32_e32 vcc_lo, 0, v2
	v_or_b32_e32 v7, v7, v8
	v_mov_b32_e32 v8, 0x7e00
	v_add_nc_u32_e32 v3, v3, v7
	v_cndmask_b32_e32 v2, 0x7c00, v8, vcc_lo
	v_cmp_gt_i32_e32 vcc_lo, 31, v6
	v_cndmask_b32_e32 v3, 0x7c00, v3, vcc_lo
	v_cmp_eq_u32_e32 vcc_lo, 0x40f, v6
	v_cndmask_b32_e32 v2, v3, v2, vcc_lo
	v_lshrrev_b32_e32 v3, 16, v1
	v_and_or_b32 v2, 0x8000, v3, v2
	global_store_short v[4:5], v2, off
.LBB9_236:
	s_mov_b32 s6, 0
.LBB9_237:
	s_andn2_b32 vcc_lo, exec_lo, s6
	s_cbranch_vccnz .LBB9_253
; %bb.238:
	s_cmp_lt_i32 s5, 2
	s_mov_b32 s6, -1
	s_cbranch_scc1 .LBB9_248
; %bb.239:
	s_cmp_lt_i32 s5, 3
	s_cbranch_scc1 .LBB9_245
; %bb.240:
	s_cmp_gt_i32 s5, 3
	s_cbranch_scc0 .LBB9_242
; %bb.241:
	v_trunc_f64_e32 v[2:3], v[0:1]
	s_mov_b32 s6, 0
	v_ldexp_f64 v[6:7], v[2:3], 0xffffffe0
	v_floor_f64_e32 v[6:7], v[6:7]
	v_fma_f64 v[2:3], 0xc1f00000, v[6:7], v[2:3]
	v_cvt_i32_f64_e32 v7, v[6:7]
	v_cvt_u32_f64_e32 v6, v[2:3]
	global_store_dwordx2 v[4:5], v[6:7], off
.LBB9_242:
	s_andn2_b32 vcc_lo, exec_lo, s6
	s_cbranch_vccnz .LBB9_244
; %bb.243:
	v_cvt_i32_f64_e32 v2, v[0:1]
	global_store_dword v[4:5], v2, off
.LBB9_244:
	s_mov_b32 s6, 0
.LBB9_245:
	s_andn2_b32 vcc_lo, exec_lo, s6
	s_cbranch_vccnz .LBB9_247
; %bb.246:
	v_cvt_i32_f64_e32 v2, v[0:1]
	global_store_short v[4:5], v2, off
.LBB9_247:
	s_mov_b32 s6, 0
.LBB9_248:
	s_andn2_b32 vcc_lo, exec_lo, s6
	s_cbranch_vccnz .LBB9_253
; %bb.249:
	s_cmp_gt_i32 s5, 0
	s_mov_b32 s5, -1
	s_cbranch_scc0 .LBB9_251
; %bb.250:
	v_cvt_i32_f64_e32 v2, v[0:1]
	s_mov_b32 s5, 0
	global_store_byte v[4:5], v2, off
.LBB9_251:
	s_andn2_b32 vcc_lo, exec_lo, s5
	s_cbranch_vccnz .LBB9_253
; %bb.252:
	v_trunc_f64_e32 v[0:1], v[0:1]
	v_ldexp_f64 v[2:3], v[0:1], 0xffffffe0
	v_floor_f64_e32 v[2:3], v[2:3]
	v_fma_f64 v[0:1], 0xc1f00000, v[2:3], v[0:1]
	v_cvt_u32_f64_e32 v0, v[0:1]
	global_store_byte v[4:5], v0, off
.LBB9_253:
	s_branch .LBB9_138
.LBB9_254:
	s_mov_b32 s5, 0
                                        ; implicit-def: $vgpr46
.LBB9_255:
	s_andn2_b32 s6, s34, exec_lo
	s_and_b32 s4, s4, exec_lo
	s_orn2_b32 s7, s5, exec_lo
	s_or_b32 s41, s6, s4
.LBB9_256:
	s_or_b32 exec_lo, exec_lo, s42
	s_mov_b32 s4, 0
	s_mov_b32 s6, 0
                                        ; implicit-def: $sgpr5
                                        ; implicit-def: $vgpr4_vgpr5
                                        ; implicit-def: $vgpr0_vgpr1
	s_and_saveexec_b32 s42, s7
	s_cbranch_execz .LBB9_471
; %bb.257:
	s_mov_b32 s7, -1
	s_mov_b32 s44, s41
	s_mov_b32 s43, exec_lo
	v_cmpx_gt_i32_e64 s35, v46
	s_cbranch_execz .LBB9_386
; %bb.258:
	v_mov_b32_e32 v0, s38
	v_mov_b32_e32 v1, s39
	;; [unrolled: 1-line block ×5, first 2 shown]
	s_getpc_b64 s[4:5]
	s_add_u32 s4, s4, _ZN2at6native6invokeIZZZNS0_12_GLOBAL__N_121bessel_y1_kernel_cudaERNS_18TensorIteratorBaseEENKUlvE_clEvENKUlvE_clEvEUldE_i15function_traitsIS7_EEENT1_11result_typeERKT_PrKPcPKT0_PKN3c1010ScalarTypeEi@rel32@lo+4
	s_addc_u32 s5, s5, _ZN2at6native6invokeIZZZNS0_12_GLOBAL__N_121bessel_y1_kernel_cudaERNS_18TensorIteratorBaseEENKUlvE_clEvENKUlvE_clEvEUldE_i15function_traitsIS7_EEENT1_11result_typeERKT_PrKPcPKT0_PKN3c1010ScalarTypeEi@rel32@hi+12
	s_swappc_b64 s[30:31], s[4:5]
	v_mul_lo_u32 v2, v46, s26
	s_and_b32 s5, s28, 0xff
	s_cmp_lt_i32 s5, 11
	v_ashrrev_i32_e32 v3, 31, v2
	v_add_co_u32 v4, vcc_lo, s36, v2
	v_add_co_ci_u32_e64 v5, null, s37, v3, vcc_lo
	s_cbranch_scc1 .LBB9_265
; %bb.259:
	s_and_b32 s6, 0xffff, s5
	s_cmp_gt_i32 s6, 25
	s_cbranch_scc0 .LBB9_266
; %bb.260:
	s_cmp_gt_i32 s6, 28
	s_cbranch_scc0 .LBB9_267
; %bb.261:
	;; [unrolled: 3-line block ×4, first 2 shown]
	s_mov_b32 s8, 0
	s_mov_b32 s4, -1
	s_cmp_eq_u32 s6, 46
	s_mov_b32 s7, 0
	s_cbranch_scc0 .LBB9_274
; %bb.264:
	v_cvt_f32_f64_e32 v2, v[0:1]
	s_mov_b32 s7, -1
	s_mov_b32 s4, 0
	v_bfe_u32 v3, v2, 16, 1
	v_cmp_o_f32_e32 vcc_lo, v2, v2
	v_add3_u32 v2, v2, v3, 0x7fff
	v_mov_b32_e32 v3, 0x7fc0
	v_cndmask_b32_sdwa v2, v3, v2, vcc_lo dst_sel:DWORD dst_unused:UNUSED_PAD src0_sel:DWORD src1_sel:WORD_1
	global_store_dword v[4:5], v2, off
	s_branch .LBB9_274
.LBB9_265:
	s_mov_b32 s6, -1
	s_mov_b32 s7, 0
	s_mov_b32 s4, s41
	s_branch .LBB9_343
.LBB9_266:
	s_mov_b32 s8, -1
	s_mov_b32 s7, 0
	s_mov_b32 s4, s41
	s_branch .LBB9_301
.LBB9_267:
	s_mov_b32 s8, -1
	s_mov_b32 s7, 0
	s_mov_b32 s4, s41
	s_branch .LBB9_284
.LBB9_268:
	s_andn2_saveexec_b32 s9, s9
	s_cbranch_execz .LBB9_168
.LBB9_269:
	v_add_f32_e64 v3, 0x46000000, |v2|
	s_andn2_b32 s8, s8, exec_lo
	v_and_b32_e32 v3, 0xff, v3
	v_cmp_ne_u32_e32 vcc_lo, 0, v3
	s_and_b32 s10, vcc_lo, exec_lo
	s_or_b32 s8, s8, s10
	s_or_b32 exec_lo, exec_lo, s9
	v_mov_b32_e32 v6, 0
	s_and_saveexec_b32 s9, s8
	s_cbranch_execnz .LBB9_169
	s_branch .LBB9_170
.LBB9_270:
	s_mov_b32 s8, -1
	s_mov_b32 s7, 0
	s_mov_b32 s4, s41
	s_branch .LBB9_280
.LBB9_271:
	s_andn2_saveexec_b32 s9, s9
	s_cbranch_execz .LBB9_181
.LBB9_272:
	v_add_f32_e64 v3, 0x42800000, |v2|
	s_andn2_b32 s8, s8, exec_lo
	v_and_b32_e32 v3, 0xff, v3
	v_cmp_ne_u32_e32 vcc_lo, 0, v3
	s_and_b32 s10, vcc_lo, exec_lo
	s_or_b32 s8, s8, s10
	s_or_b32 exec_lo, exec_lo, s9
	v_mov_b32_e32 v6, 0
	s_and_saveexec_b32 s9, s8
	s_cbranch_execnz .LBB9_182
	s_branch .LBB9_183
.LBB9_273:
	s_mov_b32 s8, -1
	s_mov_b32 s7, 0
	s_mov_b32 s4, s41
.LBB9_274:
	s_and_b32 vcc_lo, exec_lo, s8
	s_cbranch_vccz .LBB9_279
; %bb.275:
	s_cmp_eq_u32 s6, 44
	s_mov_b32 s4, -1
	s_cbranch_scc0 .LBB9_279
; %bb.276:
	v_cvt_f32_f64_e32 v2, v[0:1]
	v_mov_b32_e32 v3, 0xff
	s_mov_b32 s7, exec_lo
	v_bfe_u32 v6, v2, 23, 8
	v_cmpx_ne_u32_e32 0xff, v6
	s_cbranch_execz .LBB9_278
; %bb.277:
	v_and_b32_e32 v3, 0x400000, v2
	v_and_or_b32 v6, 0x3fffff, v2, v6
	v_lshrrev_b32_e32 v2, 23, v2
	v_cmp_ne_u32_e32 vcc_lo, 0, v3
	v_cmp_ne_u32_e64 s4, 0, v6
	s_and_b32 s4, vcc_lo, s4
	v_cndmask_b32_e64 v3, 0, 1, s4
	v_add_nc_u32_e32 v3, v2, v3
.LBB9_278:
	s_or_b32 exec_lo, exec_lo, s7
	s_mov_b32 s7, -1
	s_mov_b32 s4, 0
	global_store_byte v[4:5], v3, off
.LBB9_279:
	s_mov_b32 s8, 0
.LBB9_280:
	s_and_b32 vcc_lo, exec_lo, s8
	s_cbranch_vccz .LBB9_283
; %bb.281:
	s_cmp_eq_u32 s6, 29
	s_mov_b32 s4, -1
	s_cbranch_scc0 .LBB9_283
; %bb.282:
	v_trunc_f64_e32 v[2:3], v[0:1]
	s_mov_b32 s7, -1
	s_mov_b32 s4, 0
	s_mov_b32 s8, 0
	v_ldexp_f64 v[6:7], v[2:3], 0xffffffe0
	v_floor_f64_e32 v[6:7], v[6:7]
	v_fma_f64 v[2:3], 0xc1f00000, v[6:7], v[2:3]
	v_cvt_u32_f64_e32 v7, v[6:7]
	v_cvt_u32_f64_e32 v6, v[2:3]
	global_store_dwordx2 v[4:5], v[6:7], off
	s_branch .LBB9_284
.LBB9_283:
	s_mov_b32 s8, 0
.LBB9_284:
	s_and_b32 vcc_lo, exec_lo, s8
	s_cbranch_vccz .LBB9_300
; %bb.285:
	s_cmp_lt_i32 s6, 27
	s_mov_b32 s7, -1
	s_cbranch_scc1 .LBB9_291
; %bb.286:
	v_cvt_u32_f64_e32 v2, v[0:1]
	s_cmp_gt_i32 s6, 27
	s_cbranch_scc0 .LBB9_288
; %bb.287:
	s_mov_b32 s7, 0
	global_store_dword v[4:5], v2, off
.LBB9_288:
	s_andn2_b32 vcc_lo, exec_lo, s7
	s_cbranch_vccnz .LBB9_290
; %bb.289:
	global_store_short v[4:5], v2, off
.LBB9_290:
	s_mov_b32 s7, 0
.LBB9_291:
	s_andn2_b32 vcc_lo, exec_lo, s7
	s_cbranch_vccnz .LBB9_299
; %bb.292:
	v_cvt_f32_f64_e32 v2, v[0:1]
	v_mov_b32_e32 v6, 0x80
	s_mov_b32 s7, exec_lo
	v_and_b32_e32 v3, 0x7fffffff, v2
	v_cmpx_gt_u32_e32 0x43800000, v3
	s_cbranch_execz .LBB9_298
; %bb.293:
	v_cmp_lt_u32_e32 vcc_lo, 0x3bffffff, v3
	s_mov_b32 s8, 0
                                        ; implicit-def: $vgpr3
	s_and_saveexec_b32 s9, vcc_lo
	s_xor_b32 s9, exec_lo, s9
	s_cbranch_execz .LBB9_396
; %bb.294:
	v_bfe_u32 v3, v2, 20, 1
	s_mov_b32 s8, exec_lo
	v_add3_u32 v3, v2, v3, 0x487ffff
	v_lshrrev_b32_e32 v3, 20, v3
	s_andn2_saveexec_b32 s9, s9
	s_cbranch_execnz .LBB9_397
.LBB9_295:
	s_or_b32 exec_lo, exec_lo, s9
	v_mov_b32_e32 v6, 0
	s_and_saveexec_b32 s9, s8
.LBB9_296:
	v_lshrrev_b32_e32 v2, 24, v2
	v_and_or_b32 v6, 0x80, v2, v3
.LBB9_297:
	s_or_b32 exec_lo, exec_lo, s9
.LBB9_298:
	s_or_b32 exec_lo, exec_lo, s7
	global_store_byte v[4:5], v6, off
.LBB9_299:
	s_mov_b32 s7, -1
.LBB9_300:
	s_mov_b32 s8, 0
.LBB9_301:
	s_and_b32 vcc_lo, exec_lo, s8
	s_cbranch_vccz .LBB9_342
; %bb.302:
	s_cmp_gt_i32 s6, 22
	s_mov_b32 s8, -1
	s_cbranch_scc0 .LBB9_334
; %bb.303:
	s_cmp_lt_i32 s6, 24
	s_mov_b32 s7, -1
	s_cbranch_scc1 .LBB9_323
; %bb.304:
	s_cmp_gt_i32 s6, 24
	s_cbranch_scc0 .LBB9_312
; %bb.305:
	v_cvt_f32_f64_e32 v2, v[0:1]
	v_mov_b32_e32 v6, 0x80
	s_mov_b32 s7, exec_lo
	v_and_b32_e32 v3, 0x7fffffff, v2
	v_cmpx_gt_u32_e32 0x47800000, v3
	s_cbranch_execz .LBB9_311
; %bb.306:
	v_cmp_lt_u32_e32 vcc_lo, 0x37ffffff, v3
	s_mov_b32 s8, 0
                                        ; implicit-def: $vgpr3
	s_and_saveexec_b32 s9, vcc_lo
	s_xor_b32 s9, exec_lo, s9
	s_cbranch_execz .LBB9_398
; %bb.307:
	v_bfe_u32 v3, v2, 21, 1
	s_mov_b32 s8, exec_lo
	v_add3_u32 v3, v2, v3, 0x88fffff
	v_lshrrev_b32_e32 v3, 21, v3
	s_andn2_saveexec_b32 s9, s9
	s_cbranch_execnz .LBB9_399
.LBB9_308:
	s_or_b32 exec_lo, exec_lo, s9
	v_mov_b32_e32 v6, 0
	s_and_saveexec_b32 s9, s8
.LBB9_309:
	v_lshrrev_b32_e32 v2, 24, v2
	v_and_or_b32 v6, 0x80, v2, v3
.LBB9_310:
	s_or_b32 exec_lo, exec_lo, s9
.LBB9_311:
	s_or_b32 exec_lo, exec_lo, s7
	s_mov_b32 s7, 0
	global_store_byte v[4:5], v6, off
.LBB9_312:
	s_and_b32 vcc_lo, exec_lo, s7
	s_cbranch_vccz .LBB9_322
; %bb.313:
	v_cvt_f32_f64_e32 v2, v[0:1]
	s_mov_b32 s7, exec_lo
                                        ; implicit-def: $vgpr3
	v_and_b32_e32 v6, 0x7fffffff, v2
	v_cmpx_gt_u32_e32 0x43f00000, v6
	s_xor_b32 s7, exec_lo, s7
	s_cbranch_execz .LBB9_319
; %bb.314:
	s_mov_b32 s8, exec_lo
                                        ; implicit-def: $vgpr3
	v_cmpx_lt_u32_e32 0x3c7fffff, v6
	s_xor_b32 s8, exec_lo, s8
; %bb.315:
	v_bfe_u32 v3, v2, 20, 1
	v_add3_u32 v3, v2, v3, 0x407ffff
	v_and_b32_e32 v6, 0xff00000, v3
	v_lshrrev_b32_e32 v3, 20, v3
	v_cmp_ne_u32_e32 vcc_lo, 0x7f00000, v6
	v_cndmask_b32_e32 v3, 0x7e, v3, vcc_lo
; %bb.316:
	s_andn2_saveexec_b32 s8, s8
; %bb.317:
	v_add_f32_e64 v3, 0x46800000, |v2|
; %bb.318:
	s_or_b32 exec_lo, exec_lo, s8
                                        ; implicit-def: $vgpr6
.LBB9_319:
	s_andn2_saveexec_b32 s7, s7
; %bb.320:
	v_mov_b32_e32 v3, 0x7f
	v_cmp_lt_u32_e32 vcc_lo, 0x7f800000, v6
	v_cndmask_b32_e32 v3, 0x7e, v3, vcc_lo
; %bb.321:
	s_or_b32 exec_lo, exec_lo, s7
	v_lshrrev_b32_e32 v2, 24, v2
	v_and_or_b32 v2, 0x80, v2, v3
	global_store_byte v[4:5], v2, off
.LBB9_322:
	s_mov_b32 s7, 0
.LBB9_323:
	s_andn2_b32 vcc_lo, exec_lo, s7
	s_cbranch_vccnz .LBB9_333
; %bb.324:
	v_cvt_f32_f64_e32 v2, v[0:1]
	s_mov_b32 s7, exec_lo
                                        ; implicit-def: $vgpr3
	v_and_b32_e32 v6, 0x7fffffff, v2
	v_cmpx_gt_u32_e32 0x47800000, v6
	s_xor_b32 s7, exec_lo, s7
	s_cbranch_execz .LBB9_330
; %bb.325:
	s_mov_b32 s8, exec_lo
                                        ; implicit-def: $vgpr3
	v_cmpx_lt_u32_e32 0x387fffff, v6
	s_xor_b32 s8, exec_lo, s8
; %bb.326:
	v_bfe_u32 v3, v2, 21, 1
	v_add3_u32 v3, v2, v3, 0x80fffff
	v_lshrrev_b32_e32 v3, 21, v3
; %bb.327:
	s_andn2_saveexec_b32 s8, s8
; %bb.328:
	v_add_f32_e64 v3, 0x43000000, |v2|
; %bb.329:
	s_or_b32 exec_lo, exec_lo, s8
                                        ; implicit-def: $vgpr6
.LBB9_330:
	s_andn2_saveexec_b32 s7, s7
; %bb.331:
	v_mov_b32_e32 v3, 0x7f
	v_cmp_lt_u32_e32 vcc_lo, 0x7f800000, v6
	v_cndmask_b32_e32 v3, 0x7c, v3, vcc_lo
; %bb.332:
	s_or_b32 exec_lo, exec_lo, s7
	v_lshrrev_b32_e32 v2, 24, v2
	v_and_or_b32 v2, 0x80, v2, v3
	global_store_byte v[4:5], v2, off
.LBB9_333:
	s_mov_b32 s8, 0
	s_mov_b32 s7, -1
.LBB9_334:
	s_andn2_b32 vcc_lo, exec_lo, s8
	s_cbranch_vccnz .LBB9_342
; %bb.335:
	s_cmp_gt_i32 s6, 14
	s_mov_b32 s8, -1
	s_cbranch_scc0 .LBB9_339
; %bb.336:
	s_cmp_eq_u32 s6, 15
	s_mov_b32 s4, -1
	s_cbranch_scc0 .LBB9_338
; %bb.337:
	v_cvt_f32_f64_e32 v2, v[0:1]
	s_mov_b32 s7, -1
	s_mov_b32 s4, 0
	v_bfe_u32 v3, v2, 16, 1
	v_cmp_o_f32_e32 vcc_lo, v2, v2
	v_add3_u32 v2, v2, v3, 0x7fff
	v_mov_b32_e32 v3, 0x7fc0
	v_cndmask_b32_sdwa v2, v3, v2, vcc_lo dst_sel:DWORD dst_unused:UNUSED_PAD src0_sel:DWORD src1_sel:WORD_1
	global_store_short v[4:5], v2, off
.LBB9_338:
	s_mov_b32 s8, 0
.LBB9_339:
	s_and_b32 vcc_lo, exec_lo, s8
	s_cbranch_vccz .LBB9_342
; %bb.340:
	s_cmp_eq_u32 s6, 11
	s_mov_b32 s4, -1
	s_cbranch_scc0 .LBB9_342
; %bb.341:
	v_cmp_neq_f64_e32 vcc_lo, 0, v[0:1]
	s_mov_b32 s7, -1
	s_mov_b32 s4, 0
	v_cndmask_b32_e64 v2, 0, 1, vcc_lo
	global_store_byte v[4:5], v2, off
.LBB9_342:
	s_mov_b32 s6, 0
.LBB9_343:
	s_and_b32 vcc_lo, exec_lo, s6
	s_cbranch_vccz .LBB9_382
; %bb.344:
	s_and_b32 s5, 0xffff, s5
	s_mov_b32 s6, -1
	s_cmp_lt_i32 s5, 5
	s_cbranch_scc1 .LBB9_365
; %bb.345:
	s_cmp_lt_i32 s5, 8
	s_cbranch_scc1 .LBB9_355
; %bb.346:
	;; [unrolled: 3-line block ×3, first 2 shown]
	s_cmp_gt_i32 s5, 9
	s_cbranch_scc0 .LBB9_349
; %bb.348:
	v_mov_b32_e32 v2, 0
	s_mov_b32 s6, 0
	v_mov_b32_e32 v3, v2
	global_store_dwordx4 v[4:5], v[0:3], off
.LBB9_349:
	s_andn2_b32 vcc_lo, exec_lo, s6
	s_cbranch_vccnz .LBB9_351
; %bb.350:
	v_cvt_f32_f64_e32 v2, v[0:1]
	v_mov_b32_e32 v3, 0
	global_store_dwordx2 v[4:5], v[2:3], off
.LBB9_351:
	s_mov_b32 s6, 0
.LBB9_352:
	s_andn2_b32 vcc_lo, exec_lo, s6
	s_cbranch_vccnz .LBB9_354
; %bb.353:
	v_and_or_b32 v2, 0x1ff, v1, v0
	v_lshrrev_b32_e32 v3, 8, v1
	v_bfe_u32 v6, v1, 20, 11
	v_cmp_ne_u32_e32 vcc_lo, 0, v2
	v_sub_nc_u32_e32 v7, 0x3f1, v6
	v_add_nc_u32_e32 v6, 0xfffffc10, v6
	v_cndmask_b32_e64 v2, 0, 1, vcc_lo
	v_and_or_b32 v2, 0xffe, v3, v2
	v_med3_i32 v3, v7, 0, 13
	v_or_b32_e32 v7, 0x1000, v2
	v_lshrrev_b32_e32 v8, v3, v7
	v_lshlrev_b32_e32 v3, v3, v8
	v_cmp_ne_u32_e32 vcc_lo, v3, v7
	v_lshl_or_b32 v7, v6, 12, v2
	v_cndmask_b32_e64 v3, 0, 1, vcc_lo
	v_cmp_gt_i32_e32 vcc_lo, 1, v6
	v_or_b32_e32 v3, v8, v3
	v_cndmask_b32_e32 v3, v7, v3, vcc_lo
	v_and_b32_e32 v7, 7, v3
	v_lshrrev_b32_e32 v3, 2, v3
	v_cmp_lt_i32_e32 vcc_lo, 5, v7
	v_cndmask_b32_e64 v8, 0, 1, vcc_lo
	v_cmp_eq_u32_e32 vcc_lo, 3, v7
	v_cndmask_b32_e64 v7, 0, 1, vcc_lo
	v_cmp_ne_u32_e32 vcc_lo, 0, v2
	v_or_b32_e32 v7, v7, v8
	v_mov_b32_e32 v8, 0x7e00
	v_add_nc_u32_e32 v3, v3, v7
	v_cndmask_b32_e32 v2, 0x7c00, v8, vcc_lo
	v_cmp_gt_i32_e32 vcc_lo, 31, v6
	v_cndmask_b32_e32 v3, 0x7c00, v3, vcc_lo
	v_cmp_eq_u32_e32 vcc_lo, 0x40f, v6
	v_cndmask_b32_e32 v2, v3, v2, vcc_lo
	v_lshrrev_b32_e32 v3, 16, v1
	v_and_or_b32 v2, 0x8000, v3, v2
	v_and_b32_e32 v2, 0xffff, v2
	global_store_dword v[4:5], v2, off
.LBB9_354:
	s_mov_b32 s6, 0
.LBB9_355:
	s_andn2_b32 vcc_lo, exec_lo, s6
	s_cbranch_vccnz .LBB9_364
; %bb.356:
	s_cmp_lt_i32 s5, 6
	s_mov_b32 s6, -1
	s_cbranch_scc1 .LBB9_362
; %bb.357:
	s_cmp_gt_i32 s5, 6
	s_cbranch_scc0 .LBB9_359
; %bb.358:
	s_mov_b32 s6, 0
	global_store_dwordx2 v[4:5], v[0:1], off
.LBB9_359:
	s_andn2_b32 vcc_lo, exec_lo, s6
	s_cbranch_vccnz .LBB9_361
; %bb.360:
	v_cvt_f32_f64_e32 v2, v[0:1]
	global_store_dword v[4:5], v2, off
.LBB9_361:
	s_mov_b32 s6, 0
.LBB9_362:
	s_andn2_b32 vcc_lo, exec_lo, s6
	s_cbranch_vccnz .LBB9_364
; %bb.363:
	v_and_or_b32 v2, 0x1ff, v1, v0
	v_lshrrev_b32_e32 v3, 8, v1
	v_bfe_u32 v6, v1, 20, 11
	v_cmp_ne_u32_e32 vcc_lo, 0, v2
	v_sub_nc_u32_e32 v7, 0x3f1, v6
	v_add_nc_u32_e32 v6, 0xfffffc10, v6
	v_cndmask_b32_e64 v2, 0, 1, vcc_lo
	v_and_or_b32 v2, 0xffe, v3, v2
	v_med3_i32 v3, v7, 0, 13
	v_or_b32_e32 v7, 0x1000, v2
	v_lshrrev_b32_e32 v8, v3, v7
	v_lshlrev_b32_e32 v3, v3, v8
	v_cmp_ne_u32_e32 vcc_lo, v3, v7
	v_lshl_or_b32 v7, v6, 12, v2
	v_cndmask_b32_e64 v3, 0, 1, vcc_lo
	v_cmp_gt_i32_e32 vcc_lo, 1, v6
	v_or_b32_e32 v3, v8, v3
	v_cndmask_b32_e32 v3, v7, v3, vcc_lo
	v_and_b32_e32 v7, 7, v3
	v_lshrrev_b32_e32 v3, 2, v3
	v_cmp_lt_i32_e32 vcc_lo, 5, v7
	v_cndmask_b32_e64 v8, 0, 1, vcc_lo
	v_cmp_eq_u32_e32 vcc_lo, 3, v7
	v_cndmask_b32_e64 v7, 0, 1, vcc_lo
	v_cmp_ne_u32_e32 vcc_lo, 0, v2
	v_or_b32_e32 v7, v7, v8
	v_mov_b32_e32 v8, 0x7e00
	v_add_nc_u32_e32 v3, v3, v7
	v_cndmask_b32_e32 v2, 0x7c00, v8, vcc_lo
	v_cmp_gt_i32_e32 vcc_lo, 31, v6
	v_cndmask_b32_e32 v3, 0x7c00, v3, vcc_lo
	v_cmp_eq_u32_e32 vcc_lo, 0x40f, v6
	v_cndmask_b32_e32 v2, v3, v2, vcc_lo
	v_lshrrev_b32_e32 v3, 16, v1
	v_and_or_b32 v2, 0x8000, v3, v2
	global_store_short v[4:5], v2, off
.LBB9_364:
	s_mov_b32 s6, 0
.LBB9_365:
	s_andn2_b32 vcc_lo, exec_lo, s6
	s_cbranch_vccnz .LBB9_381
; %bb.366:
	s_cmp_lt_i32 s5, 2
	s_mov_b32 s6, -1
	s_cbranch_scc1 .LBB9_376
; %bb.367:
	s_cmp_lt_i32 s5, 3
	s_cbranch_scc1 .LBB9_373
; %bb.368:
	s_cmp_gt_i32 s5, 3
	s_cbranch_scc0 .LBB9_370
; %bb.369:
	v_trunc_f64_e32 v[2:3], v[0:1]
	s_mov_b32 s6, 0
	v_ldexp_f64 v[6:7], v[2:3], 0xffffffe0
	v_floor_f64_e32 v[6:7], v[6:7]
	v_fma_f64 v[2:3], 0xc1f00000, v[6:7], v[2:3]
	v_cvt_i32_f64_e32 v7, v[6:7]
	v_cvt_u32_f64_e32 v6, v[2:3]
	global_store_dwordx2 v[4:5], v[6:7], off
.LBB9_370:
	s_andn2_b32 vcc_lo, exec_lo, s6
	s_cbranch_vccnz .LBB9_372
; %bb.371:
	v_cvt_i32_f64_e32 v2, v[0:1]
	global_store_dword v[4:5], v2, off
.LBB9_372:
	s_mov_b32 s6, 0
.LBB9_373:
	s_andn2_b32 vcc_lo, exec_lo, s6
	s_cbranch_vccnz .LBB9_375
; %bb.374:
	v_cvt_i32_f64_e32 v2, v[0:1]
	global_store_short v[4:5], v2, off
.LBB9_375:
	s_mov_b32 s6, 0
.LBB9_376:
	s_andn2_b32 vcc_lo, exec_lo, s6
	s_cbranch_vccnz .LBB9_381
; %bb.377:
	s_cmp_gt_i32 s5, 0
	s_mov_b32 s5, -1
	s_cbranch_scc0 .LBB9_379
; %bb.378:
	v_cvt_i32_f64_e32 v2, v[0:1]
	s_mov_b32 s5, 0
	global_store_byte v[4:5], v2, off
.LBB9_379:
	s_andn2_b32 vcc_lo, exec_lo, s5
	s_cbranch_vccnz .LBB9_381
; %bb.380:
	v_trunc_f64_e32 v[0:1], v[0:1]
	v_ldexp_f64 v[2:3], v[0:1], 0xffffffe0
	v_floor_f64_e32 v[2:3], v[2:3]
	v_fma_f64 v[0:1], 0xc1f00000, v[2:3], v[0:1]
	v_cvt_u32_f64_e32 v0, v[0:1]
	global_store_byte v[4:5], v0, off
.LBB9_381:
	s_mov_b32 s7, -1
.LBB9_382:
	s_andn2_b32 vcc_lo, exec_lo, s7
	s_cbranch_vccnz .LBB9_384
; %bb.383:
	v_add_nc_u32_e32 v46, 0x80, v46
	s_mov_b32 s5, -1
	s_branch .LBB9_385
.LBB9_384:
	s_mov_b32 s5, 0
                                        ; implicit-def: $vgpr46
.LBB9_385:
	s_andn2_b32 s6, s41, exec_lo
	s_and_b32 s4, s4, exec_lo
	s_orn2_b32 s7, s5, exec_lo
	s_or_b32 s44, s6, s4
.LBB9_386:
	s_or_b32 exec_lo, exec_lo, s43
	s_mov_b32 s4, 0
	s_mov_b32 s6, 0
                                        ; implicit-def: $sgpr5
                                        ; implicit-def: $vgpr4_vgpr5
                                        ; implicit-def: $vgpr0_vgpr1
	s_and_saveexec_b32 s43, s7
	s_cbranch_execz .LBB9_470
; %bb.387:
	v_cmp_gt_i32_e32 vcc_lo, s35, v46
	s_mov_b32 s7, s44
                                        ; implicit-def: $sgpr5
                                        ; implicit-def: $vgpr4_vgpr5
                                        ; implicit-def: $vgpr0_vgpr1
	s_and_saveexec_b32 s35, vcc_lo
	s_cbranch_execz .LBB9_469
; %bb.388:
	v_mov_b32_e32 v0, s38
	v_mov_b32_e32 v1, s39
	;; [unrolled: 1-line block ×5, first 2 shown]
	s_getpc_b64 s[4:5]
	s_add_u32 s4, s4, _ZN2at6native6invokeIZZZNS0_12_GLOBAL__N_121bessel_y1_kernel_cudaERNS_18TensorIteratorBaseEENKUlvE_clEvENKUlvE_clEvEUldE_i15function_traitsIS7_EEENT1_11result_typeERKT_PrKPcPKT0_PKN3c1010ScalarTypeEi@rel32@lo+4
	s_addc_u32 s5, s5, _ZN2at6native6invokeIZZZNS0_12_GLOBAL__N_121bessel_y1_kernel_cudaERNS_18TensorIteratorBaseEENKUlvE_clEvENKUlvE_clEvEUldE_i15function_traitsIS7_EEENT1_11result_typeERKT_PrKPcPKT0_PKN3c1010ScalarTypeEi@rel32@hi+12
	s_swappc_b64 s[30:31], s[4:5]
	v_mul_lo_u32 v2, v46, s26
	s_and_b32 s5, s28, 0xff
	s_cmp_lt_i32 s5, 11
	v_ashrrev_i32_e32 v3, 31, v2
	v_add_co_u32 v4, vcc_lo, s36, v2
	v_add_co_ci_u32_e64 v5, null, s37, v3, vcc_lo
	s_cbranch_scc1 .LBB9_395
; %bb.389:
	s_and_b32 s6, 0xffff, s5
	s_mov_b32 s7, -1
	s_cmp_gt_i32 s6, 25
	s_mov_b32 s4, s44
	s_cbranch_scc0 .LBB9_427
; %bb.390:
	s_cmp_gt_i32 s6, 28
	s_mov_b32 s4, s44
	s_cbranch_scc0 .LBB9_411
; %bb.391:
	;; [unrolled: 4-line block ×4, first 2 shown]
	s_cmp_eq_u32 s6, 46
	s_mov_b32 s4, -1
	s_cbranch_scc0 .LBB9_400
; %bb.394:
	v_cvt_f32_f64_e32 v2, v[0:1]
	s_mov_b32 s4, 0
	s_mov_b32 s7, 0
	v_bfe_u32 v3, v2, 16, 1
	v_cmp_o_f32_e32 vcc_lo, v2, v2
	v_add3_u32 v2, v2, v3, 0x7fff
	v_mov_b32_e32 v3, 0x7fc0
	v_cndmask_b32_sdwa v2, v3, v2, vcc_lo dst_sel:DWORD dst_unused:UNUSED_PAD src0_sel:DWORD src1_sel:WORD_1
	global_store_dword v[4:5], v2, off
	s_branch .LBB9_401
.LBB9_395:
	s_mov_b32 s8, 0
	s_mov_b32 s7, -1
	s_mov_b32 s4, s44
	s_branch .LBB9_468
.LBB9_396:
	s_andn2_saveexec_b32 s9, s9
	s_cbranch_execz .LBB9_295
.LBB9_397:
	v_add_f32_e64 v3, 0x46000000, |v2|
	s_andn2_b32 s8, s8, exec_lo
	v_and_b32_e32 v3, 0xff, v3
	v_cmp_ne_u32_e32 vcc_lo, 0, v3
	s_and_b32 s10, vcc_lo, exec_lo
	s_or_b32 s8, s8, s10
	s_or_b32 exec_lo, exec_lo, s9
	v_mov_b32_e32 v6, 0
	s_and_saveexec_b32 s9, s8
	s_cbranch_execnz .LBB9_296
	s_branch .LBB9_297
.LBB9_398:
	s_andn2_saveexec_b32 s9, s9
	s_cbranch_execz .LBB9_308
.LBB9_399:
	v_add_f32_e64 v3, 0x42800000, |v2|
	s_andn2_b32 s8, s8, exec_lo
	v_and_b32_e32 v3, 0xff, v3
	v_cmp_ne_u32_e32 vcc_lo, 0, v3
	s_and_b32 s10, vcc_lo, exec_lo
	s_or_b32 s8, s8, s10
	s_or_b32 exec_lo, exec_lo, s9
	v_mov_b32_e32 v6, 0
	s_and_saveexec_b32 s9, s8
	s_cbranch_execnz .LBB9_309
	s_branch .LBB9_310
.LBB9_400:
	s_mov_b32 s7, 0
.LBB9_401:
	s_and_b32 vcc_lo, exec_lo, s7
	s_cbranch_vccz .LBB9_406
; %bb.402:
	s_cmp_eq_u32 s6, 44
	s_mov_b32 s4, -1
	s_cbranch_scc0 .LBB9_406
; %bb.403:
	v_cvt_f32_f64_e32 v2, v[0:1]
	v_mov_b32_e32 v3, 0xff
	s_mov_b32 s7, exec_lo
	v_bfe_u32 v6, v2, 23, 8
	v_cmpx_ne_u32_e32 0xff, v6
	s_cbranch_execz .LBB9_405
; %bb.404:
	v_and_b32_e32 v3, 0x400000, v2
	v_and_or_b32 v6, 0x3fffff, v2, v6
	v_lshrrev_b32_e32 v2, 23, v2
	v_cmp_ne_u32_e32 vcc_lo, 0, v3
	v_cmp_ne_u32_e64 s4, 0, v6
	s_and_b32 s4, vcc_lo, s4
	v_cndmask_b32_e64 v3, 0, 1, s4
	v_add_nc_u32_e32 v3, v2, v3
.LBB9_405:
	s_or_b32 exec_lo, exec_lo, s7
	s_mov_b32 s4, 0
	global_store_byte v[4:5], v3, off
.LBB9_406:
	s_mov_b32 s7, 0
.LBB9_407:
	s_and_b32 vcc_lo, exec_lo, s7
	s_cbranch_vccz .LBB9_410
; %bb.408:
	s_cmp_eq_u32 s6, 29
	s_mov_b32 s4, -1
	s_cbranch_scc0 .LBB9_410
; %bb.409:
	v_trunc_f64_e32 v[2:3], v[0:1]
	s_mov_b32 s4, 0
	s_mov_b32 s7, 0
	v_ldexp_f64 v[6:7], v[2:3], 0xffffffe0
	v_floor_f64_e32 v[6:7], v[6:7]
	v_fma_f64 v[2:3], 0xc1f00000, v[6:7], v[2:3]
	v_cvt_u32_f64_e32 v7, v[6:7]
	v_cvt_u32_f64_e32 v6, v[2:3]
	global_store_dwordx2 v[4:5], v[6:7], off
	s_branch .LBB9_411
.LBB9_410:
	s_mov_b32 s7, 0
.LBB9_411:
	s_and_b32 vcc_lo, exec_lo, s7
	s_cbranch_vccz .LBB9_426
; %bb.412:
	s_cmp_lt_i32 s6, 27
	s_mov_b32 s7, -1
	s_cbranch_scc1 .LBB9_418
; %bb.413:
	v_cvt_u32_f64_e32 v2, v[0:1]
	s_cmp_gt_i32 s6, 27
	s_cbranch_scc0 .LBB9_415
; %bb.414:
	s_mov_b32 s7, 0
	global_store_dword v[4:5], v2, off
.LBB9_415:
	s_andn2_b32 vcc_lo, exec_lo, s7
	s_cbranch_vccnz .LBB9_417
; %bb.416:
	global_store_short v[4:5], v2, off
.LBB9_417:
	s_mov_b32 s7, 0
.LBB9_418:
	s_andn2_b32 vcc_lo, exec_lo, s7
	s_cbranch_vccnz .LBB9_426
; %bb.419:
	v_cvt_f32_f64_e32 v2, v[0:1]
	v_mov_b32_e32 v6, 0x80
	s_mov_b32 s7, exec_lo
	v_and_b32_e32 v3, 0x7fffffff, v2
	v_cmpx_gt_u32_e32 0x43800000, v3
	s_cbranch_execz .LBB9_425
; %bb.420:
	v_cmp_lt_u32_e32 vcc_lo, 0x3bffffff, v3
	s_mov_b32 s8, 0
                                        ; implicit-def: $vgpr3
	s_and_saveexec_b32 s9, vcc_lo
	s_xor_b32 s9, exec_lo, s9
	s_cbranch_execz .LBB9_1007
; %bb.421:
	v_bfe_u32 v3, v2, 20, 1
	s_mov_b32 s8, exec_lo
	v_add3_u32 v3, v2, v3, 0x487ffff
	v_lshrrev_b32_e32 v3, 20, v3
	s_andn2_saveexec_b32 s9, s9
	s_cbranch_execnz .LBB9_1008
.LBB9_422:
	s_or_b32 exec_lo, exec_lo, s9
	v_mov_b32_e32 v6, 0
	s_and_saveexec_b32 s9, s8
.LBB9_423:
	v_lshrrev_b32_e32 v2, 24, v2
	v_and_or_b32 v6, 0x80, v2, v3
.LBB9_424:
	s_or_b32 exec_lo, exec_lo, s9
.LBB9_425:
	s_or_b32 exec_lo, exec_lo, s7
	global_store_byte v[4:5], v6, off
.LBB9_426:
	s_mov_b32 s7, 0
.LBB9_427:
	s_and_b32 vcc_lo, exec_lo, s7
	s_mov_b32 s7, 0
	s_cbranch_vccz .LBB9_467
; %bb.428:
	s_cmp_gt_i32 s6, 22
	s_mov_b32 s8, -1
	s_cbranch_scc0 .LBB9_460
; %bb.429:
	s_cmp_lt_i32 s6, 24
	s_cbranch_scc1 .LBB9_449
; %bb.430:
	s_cmp_gt_i32 s6, 24
	s_cbranch_scc0 .LBB9_438
; %bb.431:
	v_cvt_f32_f64_e32 v2, v[0:1]
	v_mov_b32_e32 v6, 0x80
	s_mov_b32 s8, exec_lo
	v_and_b32_e32 v3, 0x7fffffff, v2
	v_cmpx_gt_u32_e32 0x47800000, v3
	s_cbranch_execz .LBB9_437
; %bb.432:
	v_cmp_lt_u32_e32 vcc_lo, 0x37ffffff, v3
	s_mov_b32 s9, 0
                                        ; implicit-def: $vgpr3
	s_and_saveexec_b32 s10, vcc_lo
	s_xor_b32 s10, exec_lo, s10
	s_cbranch_execz .LBB9_1011
; %bb.433:
	v_bfe_u32 v3, v2, 21, 1
	s_mov_b32 s9, exec_lo
	v_add3_u32 v3, v2, v3, 0x88fffff
	v_lshrrev_b32_e32 v3, 21, v3
	s_andn2_saveexec_b32 s10, s10
	s_cbranch_execnz .LBB9_1012
.LBB9_434:
	s_or_b32 exec_lo, exec_lo, s10
	v_mov_b32_e32 v6, 0
	s_and_saveexec_b32 s10, s9
.LBB9_435:
	v_lshrrev_b32_e32 v2, 24, v2
	v_and_or_b32 v6, 0x80, v2, v3
.LBB9_436:
	s_or_b32 exec_lo, exec_lo, s10
.LBB9_437:
	s_or_b32 exec_lo, exec_lo, s8
	s_mov_b32 s8, 0
	global_store_byte v[4:5], v6, off
.LBB9_438:
	s_and_b32 vcc_lo, exec_lo, s8
	s_cbranch_vccz .LBB9_448
; %bb.439:
	v_cvt_f32_f64_e32 v2, v[0:1]
	s_mov_b32 s8, exec_lo
                                        ; implicit-def: $vgpr3
	v_and_b32_e32 v6, 0x7fffffff, v2
	v_cmpx_gt_u32_e32 0x43f00000, v6
	s_xor_b32 s8, exec_lo, s8
	s_cbranch_execz .LBB9_445
; %bb.440:
	s_mov_b32 s9, exec_lo
                                        ; implicit-def: $vgpr3
	v_cmpx_lt_u32_e32 0x3c7fffff, v6
	s_xor_b32 s9, exec_lo, s9
; %bb.441:
	v_bfe_u32 v3, v2, 20, 1
	v_add3_u32 v3, v2, v3, 0x407ffff
	v_and_b32_e32 v6, 0xff00000, v3
	v_lshrrev_b32_e32 v3, 20, v3
	v_cmp_ne_u32_e32 vcc_lo, 0x7f00000, v6
	v_cndmask_b32_e32 v3, 0x7e, v3, vcc_lo
; %bb.442:
	s_andn2_saveexec_b32 s9, s9
; %bb.443:
	v_add_f32_e64 v3, 0x46800000, |v2|
; %bb.444:
	s_or_b32 exec_lo, exec_lo, s9
                                        ; implicit-def: $vgpr6
.LBB9_445:
	s_andn2_saveexec_b32 s8, s8
; %bb.446:
	v_mov_b32_e32 v3, 0x7f
	v_cmp_lt_u32_e32 vcc_lo, 0x7f800000, v6
	v_cndmask_b32_e32 v3, 0x7e, v3, vcc_lo
; %bb.447:
	s_or_b32 exec_lo, exec_lo, s8
	v_lshrrev_b32_e32 v2, 24, v2
	v_and_or_b32 v2, 0x80, v2, v3
	global_store_byte v[4:5], v2, off
.LBB9_448:
	s_mov_b32 s8, 0
.LBB9_449:
	s_andn2_b32 vcc_lo, exec_lo, s8
	s_cbranch_vccnz .LBB9_459
; %bb.450:
	v_cvt_f32_f64_e32 v2, v[0:1]
	s_mov_b32 s8, exec_lo
                                        ; implicit-def: $vgpr3
	v_and_b32_e32 v6, 0x7fffffff, v2
	v_cmpx_gt_u32_e32 0x47800000, v6
	s_xor_b32 s8, exec_lo, s8
	s_cbranch_execz .LBB9_456
; %bb.451:
	s_mov_b32 s9, exec_lo
                                        ; implicit-def: $vgpr3
	v_cmpx_lt_u32_e32 0x387fffff, v6
	s_xor_b32 s9, exec_lo, s9
; %bb.452:
	v_bfe_u32 v3, v2, 21, 1
	v_add3_u32 v3, v2, v3, 0x80fffff
	v_lshrrev_b32_e32 v3, 21, v3
; %bb.453:
	s_andn2_saveexec_b32 s9, s9
; %bb.454:
	v_add_f32_e64 v3, 0x43000000, |v2|
; %bb.455:
	s_or_b32 exec_lo, exec_lo, s9
                                        ; implicit-def: $vgpr6
.LBB9_456:
	s_andn2_saveexec_b32 s8, s8
; %bb.457:
	v_mov_b32_e32 v3, 0x7f
	v_cmp_lt_u32_e32 vcc_lo, 0x7f800000, v6
	v_cndmask_b32_e32 v3, 0x7c, v3, vcc_lo
; %bb.458:
	s_or_b32 exec_lo, exec_lo, s8
	v_lshrrev_b32_e32 v2, 24, v2
	v_and_or_b32 v2, 0x80, v2, v3
	global_store_byte v[4:5], v2, off
.LBB9_459:
	s_mov_b32 s8, 0
.LBB9_460:
	s_andn2_b32 vcc_lo, exec_lo, s8
	s_mov_b32 s8, 0
	s_cbranch_vccnz .LBB9_468
; %bb.461:
	s_cmp_gt_i32 s6, 14
	s_mov_b32 s8, -1
	s_cbranch_scc0 .LBB9_465
; %bb.462:
	s_cmp_eq_u32 s6, 15
	s_mov_b32 s4, -1
	s_cbranch_scc0 .LBB9_464
; %bb.463:
	v_cvt_f32_f64_e32 v2, v[0:1]
	s_mov_b32 s4, 0
	v_bfe_u32 v3, v2, 16, 1
	v_cmp_o_f32_e32 vcc_lo, v2, v2
	v_add3_u32 v2, v2, v3, 0x7fff
	v_mov_b32_e32 v3, 0x7fc0
	v_cndmask_b32_sdwa v2, v3, v2, vcc_lo dst_sel:DWORD dst_unused:UNUSED_PAD src0_sel:DWORD src1_sel:WORD_1
	global_store_short v[4:5], v2, off
.LBB9_464:
	s_mov_b32 s8, 0
.LBB9_465:
	s_and_b32 vcc_lo, exec_lo, s8
	s_mov_b32 s8, 0
	s_cbranch_vccz .LBB9_468
; %bb.466:
	s_cmp_lg_u32 s6, 11
	s_mov_b32 s8, -1
	s_cselect_b32 s6, -1, 0
	s_andn2_b32 s4, s4, exec_lo
	s_and_b32 s6, s6, exec_lo
	s_or_b32 s4, s4, s6
	s_branch .LBB9_468
.LBB9_467:
	s_mov_b32 s8, 0
.LBB9_468:
	s_and_b32 s6, s7, exec_lo
	s_andn2_b32 s7, s44, exec_lo
	s_and_b32 s9, s4, exec_lo
	s_and_b32 s4, s8, exec_lo
	s_or_b32 s7, s7, s9
.LBB9_469:
	s_or_b32 exec_lo, exec_lo, s35
	s_andn2_b32 s8, s44, exec_lo
	s_and_b32 s7, s7, exec_lo
	s_and_b32 s6, s6, exec_lo
	;; [unrolled: 1-line block ×3, first 2 shown]
	s_or_b32 s44, s8, s7
.LBB9_470:
	s_or_b32 exec_lo, exec_lo, s43
	s_andn2_b32 s7, s41, exec_lo
	s_and_b32 s8, s44, exec_lo
	s_and_b32 s6, s6, exec_lo
	;; [unrolled: 1-line block ×3, first 2 shown]
	s_or_b32 s41, s7, s8
.LBB9_471:
	s_or_b32 exec_lo, exec_lo, s42
	s_andn2_b32 s7, s34, exec_lo
	s_and_b32 s8, s41, exec_lo
	s_and_b32 s6, s6, exec_lo
	;; [unrolled: 1-line block ×3, first 2 shown]
	s_or_b32 s34, s7, s8
	s_or_b32 exec_lo, exec_lo, s40
	s_mov_b32 s4, 0
	s_and_saveexec_b32 s7, s34
	s_cbranch_execz .LBB9_134
.LBB9_472:
	s_mov_b32 s4, exec_lo
	s_andn2_b32 s41, s41, exec_lo
	s_trap 2
	s_or_b32 exec_lo, exec_lo, s7
	s_and_saveexec_b32 s7, s41
	s_xor_b32 s7, exec_lo, s7
	s_cbranch_execnz .LBB9_135
.LBB9_473:
	s_or_b32 exec_lo, exec_lo, s7
	s_and_saveexec_b32 s7, s6
	s_xor_b32 s6, exec_lo, s7
	s_cbranch_execz .LBB9_511
.LBB9_474:
	s_sext_i32_i16 s8, s5
	s_mov_b32 s7, -1
	s_cmp_lt_i32 s8, 5
	s_cbranch_scc1 .LBB9_495
; %bb.475:
	s_cmp_lt_i32 s8, 8
	s_cbranch_scc1 .LBB9_485
; %bb.476:
	;; [unrolled: 3-line block ×3, first 2 shown]
	s_cmp_gt_i32 s8, 9
	s_cbranch_scc0 .LBB9_479
; %bb.478:
	v_mov_b32_e32 v2, 0
	s_mov_b32 s7, 0
	v_mov_b32_e32 v3, v2
	global_store_dwordx4 v[4:5], v[0:3], off
.LBB9_479:
	s_andn2_b32 vcc_lo, exec_lo, s7
	s_cbranch_vccnz .LBB9_481
; %bb.480:
	v_cvt_f32_f64_e32 v2, v[0:1]
	v_mov_b32_e32 v3, 0
	global_store_dwordx2 v[4:5], v[2:3], off
.LBB9_481:
	s_mov_b32 s7, 0
.LBB9_482:
	s_andn2_b32 vcc_lo, exec_lo, s7
	s_cbranch_vccnz .LBB9_484
; %bb.483:
	v_and_or_b32 v2, 0x1ff, v1, v0
	v_lshrrev_b32_e32 v3, 8, v1
	v_bfe_u32 v6, v1, 20, 11
	v_cmp_ne_u32_e32 vcc_lo, 0, v2
	v_sub_nc_u32_e32 v7, 0x3f1, v6
	v_add_nc_u32_e32 v6, 0xfffffc10, v6
	v_cndmask_b32_e64 v2, 0, 1, vcc_lo
	v_and_or_b32 v2, 0xffe, v3, v2
	v_med3_i32 v3, v7, 0, 13
	v_or_b32_e32 v7, 0x1000, v2
	v_lshrrev_b32_e32 v8, v3, v7
	v_lshlrev_b32_e32 v3, v3, v8
	v_cmp_ne_u32_e32 vcc_lo, v3, v7
	v_lshl_or_b32 v7, v6, 12, v2
	v_cndmask_b32_e64 v3, 0, 1, vcc_lo
	v_cmp_gt_i32_e32 vcc_lo, 1, v6
	v_or_b32_e32 v3, v8, v3
	v_cndmask_b32_e32 v3, v7, v3, vcc_lo
	v_and_b32_e32 v7, 7, v3
	v_lshrrev_b32_e32 v3, 2, v3
	v_cmp_lt_i32_e32 vcc_lo, 5, v7
	v_cndmask_b32_e64 v8, 0, 1, vcc_lo
	v_cmp_eq_u32_e32 vcc_lo, 3, v7
	v_cndmask_b32_e64 v7, 0, 1, vcc_lo
	v_cmp_ne_u32_e32 vcc_lo, 0, v2
	v_or_b32_e32 v7, v7, v8
	v_mov_b32_e32 v8, 0x7e00
	v_add_nc_u32_e32 v3, v3, v7
	v_cndmask_b32_e32 v2, 0x7c00, v8, vcc_lo
	v_cmp_gt_i32_e32 vcc_lo, 31, v6
	v_cndmask_b32_e32 v3, 0x7c00, v3, vcc_lo
	v_cmp_eq_u32_e32 vcc_lo, 0x40f, v6
	v_cndmask_b32_e32 v2, v3, v2, vcc_lo
	v_lshrrev_b32_e32 v3, 16, v1
	v_and_or_b32 v2, 0x8000, v3, v2
	v_and_b32_e32 v2, 0xffff, v2
	global_store_dword v[4:5], v2, off
.LBB9_484:
	s_mov_b32 s7, 0
.LBB9_485:
	s_andn2_b32 vcc_lo, exec_lo, s7
	s_cbranch_vccnz .LBB9_494
; %bb.486:
	s_sext_i32_i16 s8, s5
	s_mov_b32 s7, -1
	s_cmp_lt_i32 s8, 6
	s_cbranch_scc1 .LBB9_492
; %bb.487:
	s_cmp_gt_i32 s8, 6
	s_cbranch_scc0 .LBB9_489
; %bb.488:
	s_mov_b32 s7, 0
	global_store_dwordx2 v[4:5], v[0:1], off
.LBB9_489:
	s_andn2_b32 vcc_lo, exec_lo, s7
	s_cbranch_vccnz .LBB9_491
; %bb.490:
	v_cvt_f32_f64_e32 v2, v[0:1]
	global_store_dword v[4:5], v2, off
.LBB9_491:
	s_mov_b32 s7, 0
.LBB9_492:
	s_andn2_b32 vcc_lo, exec_lo, s7
	s_cbranch_vccnz .LBB9_494
; %bb.493:
	v_and_or_b32 v2, 0x1ff, v1, v0
	v_lshrrev_b32_e32 v3, 8, v1
	v_bfe_u32 v6, v1, 20, 11
	v_cmp_ne_u32_e32 vcc_lo, 0, v2
	v_sub_nc_u32_e32 v7, 0x3f1, v6
	v_add_nc_u32_e32 v6, 0xfffffc10, v6
	v_cndmask_b32_e64 v2, 0, 1, vcc_lo
	v_and_or_b32 v2, 0xffe, v3, v2
	v_med3_i32 v3, v7, 0, 13
	v_or_b32_e32 v7, 0x1000, v2
	v_lshrrev_b32_e32 v8, v3, v7
	v_lshlrev_b32_e32 v3, v3, v8
	v_cmp_ne_u32_e32 vcc_lo, v3, v7
	v_lshl_or_b32 v7, v6, 12, v2
	v_cndmask_b32_e64 v3, 0, 1, vcc_lo
	v_cmp_gt_i32_e32 vcc_lo, 1, v6
	v_or_b32_e32 v3, v8, v3
	v_cndmask_b32_e32 v3, v7, v3, vcc_lo
	v_and_b32_e32 v7, 7, v3
	v_lshrrev_b32_e32 v3, 2, v3
	v_cmp_lt_i32_e32 vcc_lo, 5, v7
	v_cndmask_b32_e64 v8, 0, 1, vcc_lo
	v_cmp_eq_u32_e32 vcc_lo, 3, v7
	v_cndmask_b32_e64 v7, 0, 1, vcc_lo
	v_cmp_ne_u32_e32 vcc_lo, 0, v2
	v_or_b32_e32 v7, v7, v8
	v_mov_b32_e32 v8, 0x7e00
	v_add_nc_u32_e32 v3, v3, v7
	v_cndmask_b32_e32 v2, 0x7c00, v8, vcc_lo
	v_cmp_gt_i32_e32 vcc_lo, 31, v6
	v_cndmask_b32_e32 v3, 0x7c00, v3, vcc_lo
	v_cmp_eq_u32_e32 vcc_lo, 0x40f, v6
	v_cndmask_b32_e32 v2, v3, v2, vcc_lo
	v_lshrrev_b32_e32 v3, 16, v1
	v_and_or_b32 v2, 0x8000, v3, v2
	global_store_short v[4:5], v2, off
.LBB9_494:
	s_mov_b32 s7, 0
.LBB9_495:
	s_andn2_b32 vcc_lo, exec_lo, s7
	s_cbranch_vccnz .LBB9_511
; %bb.496:
	s_sext_i32_i16 s8, s5
	s_mov_b32 s7, -1
	s_cmp_lt_i32 s8, 2
	s_cbranch_scc1 .LBB9_506
; %bb.497:
	s_cmp_lt_i32 s8, 3
	s_cbranch_scc1 .LBB9_503
; %bb.498:
	s_cmp_gt_i32 s8, 3
	s_cbranch_scc0 .LBB9_500
; %bb.499:
	v_trunc_f64_e32 v[2:3], v[0:1]
	s_mov_b32 s7, 0
	v_ldexp_f64 v[6:7], v[2:3], 0xffffffe0
	v_floor_f64_e32 v[6:7], v[6:7]
	v_fma_f64 v[2:3], 0xc1f00000, v[6:7], v[2:3]
	v_cvt_i32_f64_e32 v7, v[6:7]
	v_cvt_u32_f64_e32 v6, v[2:3]
	global_store_dwordx2 v[4:5], v[6:7], off
.LBB9_500:
	s_andn2_b32 vcc_lo, exec_lo, s7
	s_cbranch_vccnz .LBB9_502
; %bb.501:
	v_cvt_i32_f64_e32 v2, v[0:1]
	global_store_dword v[4:5], v2, off
.LBB9_502:
	s_mov_b32 s7, 0
.LBB9_503:
	s_andn2_b32 vcc_lo, exec_lo, s7
	s_cbranch_vccnz .LBB9_505
; %bb.504:
	v_cvt_i32_f64_e32 v2, v[0:1]
	global_store_short v[4:5], v2, off
.LBB9_505:
	s_mov_b32 s7, 0
.LBB9_506:
	s_andn2_b32 vcc_lo, exec_lo, s7
	s_cbranch_vccnz .LBB9_511
; %bb.507:
	s_sext_i32_i16 s5, s5
	s_cmp_gt_i32 s5, 0
	s_mov_b32 s5, -1
	s_cbranch_scc0 .LBB9_509
; %bb.508:
	v_cvt_i32_f64_e32 v2, v[0:1]
	s_mov_b32 s5, 0
	global_store_byte v[4:5], v2, off
.LBB9_509:
	s_andn2_b32 vcc_lo, exec_lo, s5
	s_cbranch_vccnz .LBB9_511
; %bb.510:
	v_trunc_f64_e32 v[0:1], v[0:1]
	v_ldexp_f64 v[2:3], v[0:1], 0xffffffe0
	v_floor_f64_e32 v[2:3], v[2:3]
	v_fma_f64 v[0:1], 0xc1f00000, v[2:3], v[0:1]
	v_cvt_u32_f64_e32 v0, v[0:1]
	global_store_byte v[4:5], v0, off
.LBB9_511:
	s_or_b32 exec_lo, exec_lo, s6
	s_and_b32 s34, s4, exec_lo
                                        ; implicit-def: $vgpr46
                                        ; implicit-def: $vgpr47
                                        ; implicit-def: $vgpr56
.LBB9_512:
	s_or_saveexec_b32 s33, s33
	s_mov_b32 s4, 0
                                        ; implicit-def: $sgpr5
                                        ; implicit-def: $vgpr4_vgpr5
                                        ; implicit-def: $vgpr0_vgpr1
	s_xor_b32 exec_lo, exec_lo, s33
	s_cbranch_execz .LBB9_945
; %bb.513:
	v_mov_b32_e32 v0, s38
	v_mov_b32_e32 v1, s39
	;; [unrolled: 1-line block ×5, first 2 shown]
	s_getpc_b64 s[40:41]
	s_add_u32 s40, s40, _ZN2at6native6invokeIZZZNS0_12_GLOBAL__N_121bessel_y1_kernel_cudaERNS_18TensorIteratorBaseEENKUlvE_clEvENKUlvE_clEvEUldE_i15function_traitsIS7_EEENT1_11result_typeERKT_PrKPcPKT0_PKN3c1010ScalarTypeEi@rel32@lo+4
	s_addc_u32 s41, s41, _ZN2at6native6invokeIZZZNS0_12_GLOBAL__N_121bessel_y1_kernel_cudaERNS_18TensorIteratorBaseEENKUlvE_clEvENKUlvE_clEvEUldE_i15function_traitsIS7_EEENT1_11result_typeERKT_PrKPcPKT0_PKN3c1010ScalarTypeEi@rel32@hi+12
	v_add_nc_u32_e32 v40, 0x80, v46
	v_add_nc_u32_e32 v41, 0x100, v46
	s_swappc_b64 s[30:31], s[40:41]
	v_mov_b32_e32 v44, v0
	v_mov_b32_e32 v45, v1
	v_mov_b32_e32 v0, s38
	v_mov_b32_e32 v1, s39
	v_mov_b32_e32 v2, s27
	v_mov_b32_e32 v3, v47
	v_mov_b32_e32 v4, v40
	s_swappc_b64 s[30:31], s[40:41]
	v_mov_b32_e32 v42, v0
	v_mov_b32_e32 v43, v1
	v_mov_b32_e32 v0, s38
	v_mov_b32_e32 v1, s39
	v_mov_b32_e32 v2, s27
	v_mov_b32_e32 v3, v47
	v_mov_b32_e32 v4, v41
	s_swappc_b64 s[30:31], s[40:41]
	v_mov_b32_e32 v40, v0
	v_mov_b32_e32 v41, v1
	v_mov_b32_e32 v0, s38
	v_mov_b32_e32 v1, s39
	v_mov_b32_e32 v2, s27
	v_mov_b32_e32 v3, v47
	v_mov_b32_e32 v4, v56
	s_swappc_b64 s[30:31], s[40:41]
	v_mul_lo_u32 v4, s26, v46
	s_and_b32 s5, s28, 0xff
	s_cmp_lt_i32 s5, 11
	v_ashrrev_i32_e32 v3, 31, v4
	v_add_co_u32 v2, vcc_lo, s36, v4
	v_add_co_ci_u32_e64 v3, null, s37, v3, vcc_lo
	s_cbranch_scc1 .LBB9_592
; %bb.514:
	s_and_b32 s6, 0xffff, s5
	s_mov_b32 s9, -1
	s_mov_b32 s7, 0
	s_cmp_gt_i32 s6, 25
	s_mov_b32 s8, 0
	s_mov_b32 s4, 0
	s_cbranch_scc0 .LBB9_547
; %bb.515:
	s_cmp_gt_i32 s6, 28
	s_cbranch_scc0 .LBB9_530
; %bb.516:
	s_cmp_gt_i32 s6, 43
	;; [unrolled: 3-line block ×3, first 2 shown]
	s_cbranch_scc0 .LBB9_520
; %bb.518:
	s_mov_b32 s4, -1
	s_mov_b32 s9, 0
	s_cmp_eq_u32 s6, 46
	s_cbranch_scc0 .LBB9_520
; %bb.519:
	v_cvt_f32_f64_e32 v5, v[44:45]
	s_mov_b32 s4, 0
	s_mov_b32 s8, -1
	v_bfe_u32 v6, v5, 16, 1
	v_cmp_o_f32_e32 vcc_lo, v5, v5
	v_add3_u32 v5, v5, v6, 0x7fff
	v_mov_b32_e32 v6, 0x7fc0
	v_cndmask_b32_sdwa v5, v6, v5, vcc_lo dst_sel:DWORD dst_unused:UNUSED_PAD src0_sel:DWORD src1_sel:WORD_1
	global_store_dword v[2:3], v5, off
.LBB9_520:
	s_and_b32 vcc_lo, exec_lo, s9
	s_cbranch_vccz .LBB9_525
; %bb.521:
	s_cmp_eq_u32 s6, 44
	s_mov_b32 s4, -1
	s_cbranch_scc0 .LBB9_525
; %bb.522:
	v_cvt_f32_f64_e32 v5, v[44:45]
	v_mov_b32_e32 v6, 0xff
	s_mov_b32 s8, exec_lo
	v_bfe_u32 v7, v5, 23, 8
	v_cmpx_ne_u32_e32 0xff, v7
	s_cbranch_execz .LBB9_524
; %bb.523:
	v_and_b32_e32 v6, 0x400000, v5
	v_and_or_b32 v7, 0x3fffff, v5, v7
	v_lshrrev_b32_e32 v5, 23, v5
	v_cmp_ne_u32_e32 vcc_lo, 0, v6
	v_cmp_ne_u32_e64 s4, 0, v7
	s_and_b32 s4, vcc_lo, s4
	v_cndmask_b32_e64 v6, 0, 1, s4
	v_add_nc_u32_e32 v6, v5, v6
.LBB9_524:
	s_or_b32 exec_lo, exec_lo, s8
	s_mov_b32 s4, 0
	s_mov_b32 s8, -1
	global_store_byte v[2:3], v6, off
.LBB9_525:
	s_mov_b32 s9, 0
.LBB9_526:
	s_and_b32 vcc_lo, exec_lo, s9
	s_cbranch_vccz .LBB9_529
; %bb.527:
	s_cmp_eq_u32 s6, 29
	s_mov_b32 s4, -1
	s_cbranch_scc0 .LBB9_529
; %bb.528:
	v_trunc_f64_e32 v[5:6], v[44:45]
	s_mov_b32 s4, 0
	s_mov_b32 s8, -1
	v_ldexp_f64 v[7:8], v[5:6], 0xffffffe0
	v_floor_f64_e32 v[7:8], v[7:8]
	v_fma_f64 v[5:6], 0xc1f00000, v[7:8], v[5:6]
	v_cvt_u32_f64_e32 v7, v[7:8]
	v_cvt_u32_f64_e32 v6, v[5:6]
	global_store_dwordx2 v[2:3], v[6:7], off
.LBB9_529:
	s_mov_b32 s9, 0
.LBB9_530:
	s_and_b32 vcc_lo, exec_lo, s9
	s_cbranch_vccz .LBB9_546
; %bb.531:
	s_cmp_lt_i32 s6, 27
	s_mov_b32 s8, -1
	s_cbranch_scc1 .LBB9_537
; %bb.532:
	v_cvt_u32_f64_e32 v5, v[44:45]
	s_cmp_gt_i32 s6, 27
	s_cbranch_scc0 .LBB9_534
; %bb.533:
	s_mov_b32 s8, 0
	global_store_dword v[2:3], v5, off
.LBB9_534:
	s_andn2_b32 vcc_lo, exec_lo, s8
	s_cbranch_vccnz .LBB9_536
; %bb.535:
	global_store_short v[2:3], v5, off
.LBB9_536:
	s_mov_b32 s8, 0
.LBB9_537:
	s_andn2_b32 vcc_lo, exec_lo, s8
	s_cbranch_vccnz .LBB9_545
; %bb.538:
	v_cvt_f32_f64_e32 v5, v[44:45]
	v_mov_b32_e32 v7, 0x80
	s_mov_b32 s8, exec_lo
	v_and_b32_e32 v6, 0x7fffffff, v5
	v_cmpx_gt_u32_e32 0x43800000, v6
	s_cbranch_execz .LBB9_544
; %bb.539:
	v_cmp_lt_u32_e32 vcc_lo, 0x3bffffff, v6
	s_mov_b32 s9, 0
                                        ; implicit-def: $vgpr6
	s_and_saveexec_b32 s10, vcc_lo
	s_xor_b32 s10, exec_lo, s10
	s_cbranch_execz .LBB9_989
; %bb.540:
	v_bfe_u32 v6, v5, 20, 1
	s_mov_b32 s9, exec_lo
	v_add3_u32 v6, v5, v6, 0x487ffff
	v_lshrrev_b32_e32 v6, 20, v6
	s_andn2_saveexec_b32 s10, s10
	s_cbranch_execnz .LBB9_990
.LBB9_541:
	s_or_b32 exec_lo, exec_lo, s10
	v_mov_b32_e32 v7, 0
	s_and_saveexec_b32 s10, s9
.LBB9_542:
	v_lshrrev_b32_e32 v5, 24, v5
	v_and_or_b32 v7, 0x80, v5, v6
.LBB9_543:
	s_or_b32 exec_lo, exec_lo, s10
.LBB9_544:
	s_or_b32 exec_lo, exec_lo, s8
	global_store_byte v[2:3], v7, off
.LBB9_545:
	s_mov_b32 s8, -1
.LBB9_546:
	s_mov_b32 s9, 0
.LBB9_547:
	s_and_b32 vcc_lo, exec_lo, s9
	s_cbranch_vccz .LBB9_587
; %bb.548:
	s_cmp_gt_i32 s6, 22
	s_mov_b32 s7, -1
	s_cbranch_scc0 .LBB9_580
; %bb.549:
	s_cmp_lt_i32 s6, 24
	s_cbranch_scc1 .LBB9_569
; %bb.550:
	s_cmp_gt_i32 s6, 24
	s_cbranch_scc0 .LBB9_558
; %bb.551:
	v_cvt_f32_f64_e32 v5, v[44:45]
	v_mov_b32_e32 v7, 0x80
	s_mov_b32 s7, exec_lo
	v_and_b32_e32 v6, 0x7fffffff, v5
	v_cmpx_gt_u32_e32 0x47800000, v6
	s_cbranch_execz .LBB9_557
; %bb.552:
	v_cmp_lt_u32_e32 vcc_lo, 0x37ffffff, v6
	s_mov_b32 s8, 0
                                        ; implicit-def: $vgpr6
	s_and_saveexec_b32 s9, vcc_lo
	s_xor_b32 s9, exec_lo, s9
	s_cbranch_execz .LBB9_992
; %bb.553:
	v_bfe_u32 v6, v5, 21, 1
	s_mov_b32 s8, exec_lo
	v_add3_u32 v6, v5, v6, 0x88fffff
	v_lshrrev_b32_e32 v6, 21, v6
	s_andn2_saveexec_b32 s9, s9
	s_cbranch_execnz .LBB9_993
.LBB9_554:
	s_or_b32 exec_lo, exec_lo, s9
	v_mov_b32_e32 v7, 0
	s_and_saveexec_b32 s9, s8
.LBB9_555:
	v_lshrrev_b32_e32 v5, 24, v5
	v_and_or_b32 v7, 0x80, v5, v6
.LBB9_556:
	s_or_b32 exec_lo, exec_lo, s9
.LBB9_557:
	s_or_b32 exec_lo, exec_lo, s7
	s_mov_b32 s7, 0
	global_store_byte v[2:3], v7, off
.LBB9_558:
	s_and_b32 vcc_lo, exec_lo, s7
	s_cbranch_vccz .LBB9_568
; %bb.559:
	v_cvt_f32_f64_e32 v5, v[44:45]
	s_mov_b32 s7, exec_lo
                                        ; implicit-def: $vgpr6
	v_and_b32_e32 v7, 0x7fffffff, v5
	v_cmpx_gt_u32_e32 0x43f00000, v7
	s_xor_b32 s7, exec_lo, s7
	s_cbranch_execz .LBB9_565
; %bb.560:
	s_mov_b32 s8, exec_lo
                                        ; implicit-def: $vgpr6
	v_cmpx_lt_u32_e32 0x3c7fffff, v7
	s_xor_b32 s8, exec_lo, s8
; %bb.561:
	v_bfe_u32 v6, v5, 20, 1
	v_add3_u32 v6, v5, v6, 0x407ffff
	v_and_b32_e32 v7, 0xff00000, v6
	v_lshrrev_b32_e32 v6, 20, v6
	v_cmp_ne_u32_e32 vcc_lo, 0x7f00000, v7
	v_cndmask_b32_e32 v6, 0x7e, v6, vcc_lo
; %bb.562:
	s_andn2_saveexec_b32 s8, s8
; %bb.563:
	v_add_f32_e64 v6, 0x46800000, |v5|
; %bb.564:
	s_or_b32 exec_lo, exec_lo, s8
                                        ; implicit-def: $vgpr7
.LBB9_565:
	s_andn2_saveexec_b32 s7, s7
; %bb.566:
	v_mov_b32_e32 v6, 0x7f
	v_cmp_lt_u32_e32 vcc_lo, 0x7f800000, v7
	v_cndmask_b32_e32 v6, 0x7e, v6, vcc_lo
; %bb.567:
	s_or_b32 exec_lo, exec_lo, s7
	v_lshrrev_b32_e32 v5, 24, v5
	v_and_or_b32 v5, 0x80, v5, v6
	global_store_byte v[2:3], v5, off
.LBB9_568:
	s_mov_b32 s7, 0
.LBB9_569:
	s_andn2_b32 vcc_lo, exec_lo, s7
	s_cbranch_vccnz .LBB9_579
; %bb.570:
	v_cvt_f32_f64_e32 v5, v[44:45]
	s_mov_b32 s7, exec_lo
                                        ; implicit-def: $vgpr6
	v_and_b32_e32 v7, 0x7fffffff, v5
	v_cmpx_gt_u32_e32 0x47800000, v7
	s_xor_b32 s7, exec_lo, s7
	s_cbranch_execz .LBB9_576
; %bb.571:
	s_mov_b32 s8, exec_lo
                                        ; implicit-def: $vgpr6
	v_cmpx_lt_u32_e32 0x387fffff, v7
	s_xor_b32 s8, exec_lo, s8
; %bb.572:
	v_bfe_u32 v6, v5, 21, 1
	v_add3_u32 v6, v5, v6, 0x80fffff
	v_lshrrev_b32_e32 v6, 21, v6
; %bb.573:
	s_andn2_saveexec_b32 s8, s8
; %bb.574:
	v_add_f32_e64 v6, 0x43000000, |v5|
; %bb.575:
	s_or_b32 exec_lo, exec_lo, s8
                                        ; implicit-def: $vgpr7
.LBB9_576:
	s_andn2_saveexec_b32 s7, s7
; %bb.577:
	v_mov_b32_e32 v6, 0x7f
	v_cmp_lt_u32_e32 vcc_lo, 0x7f800000, v7
	v_cndmask_b32_e32 v6, 0x7c, v6, vcc_lo
; %bb.578:
	s_or_b32 exec_lo, exec_lo, s7
	v_lshrrev_b32_e32 v5, 24, v5
	v_and_or_b32 v5, 0x80, v5, v6
	global_store_byte v[2:3], v5, off
.LBB9_579:
	s_mov_b32 s7, 0
	s_mov_b32 s8, -1
.LBB9_580:
	s_andn2_b32 vcc_lo, exec_lo, s7
	s_mov_b32 s7, 0
	s_cbranch_vccnz .LBB9_587
; %bb.581:
	s_cmp_gt_i32 s6, 14
	s_mov_b32 s7, -1
	s_cbranch_scc0 .LBB9_585
; %bb.582:
	s_cmp_eq_u32 s6, 15
	s_mov_b32 s4, -1
	s_cbranch_scc0 .LBB9_584
; %bb.583:
	v_cvt_f32_f64_e32 v5, v[44:45]
	s_mov_b32 s4, 0
	s_mov_b32 s8, -1
	v_bfe_u32 v6, v5, 16, 1
	v_cmp_o_f32_e32 vcc_lo, v5, v5
	v_add3_u32 v5, v5, v6, 0x7fff
	v_mov_b32_e32 v6, 0x7fc0
	v_cndmask_b32_sdwa v5, v6, v5, vcc_lo dst_sel:DWORD dst_unused:UNUSED_PAD src0_sel:DWORD src1_sel:WORD_1
	global_store_short v[2:3], v5, off
.LBB9_584:
	s_mov_b32 s7, 0
.LBB9_585:
	s_and_b32 vcc_lo, exec_lo, s7
	s_mov_b32 s7, 0
	s_cbranch_vccz .LBB9_587
; %bb.586:
	s_cmp_lg_u32 s6, 11
	s_mov_b32 s7, -1
	s_cselect_b32 s4, -1, 0
.LBB9_587:
	s_and_b32 vcc_lo, exec_lo, s4
	s_mov_b32 s6, s34
	s_cbranch_vccnz .LBB9_991
; %bb.588:
	s_andn2_b32 vcc_lo, exec_lo, s7
	s_cbranch_vccnz .LBB9_590
.LBB9_589:
	v_cmp_neq_f64_e32 vcc_lo, 0, v[44:45]
	s_mov_b32 s8, -1
	v_cndmask_b32_e64 v5, 0, 1, vcc_lo
	global_store_byte v[2:3], v5, off
.LBB9_590:
.LBB9_591:
	s_andn2_b32 vcc_lo, exec_lo, s8
	s_cbranch_vccz .LBB9_631
	s_branch .LBB9_943
.LBB9_592:
	s_mov_b32 s8, 0
	s_mov_b32 s6, s34
	s_cbranch_execz .LBB9_591
; %bb.593:
	s_and_b32 s4, 0xffff, s5
	s_mov_b32 s7, -1
	s_cmp_lt_i32 s4, 5
	s_cbranch_scc1 .LBB9_614
; %bb.594:
	s_cmp_lt_i32 s4, 8
	s_cbranch_scc1 .LBB9_604
; %bb.595:
	;; [unrolled: 3-line block ×3, first 2 shown]
	s_cmp_gt_i32 s4, 9
	s_cbranch_scc0 .LBB9_598
; %bb.597:
	v_mov_b32_e32 v46, 0
	s_mov_b32 s7, 0
	v_mov_b32_e32 v47, v46
	global_store_dwordx4 v[2:3], v[44:47], off
.LBB9_598:
	s_andn2_b32 vcc_lo, exec_lo, s7
	s_cbranch_vccnz .LBB9_600
; %bb.599:
	v_cvt_f32_f64_e32 v5, v[44:45]
	v_mov_b32_e32 v6, 0
	global_store_dwordx2 v[2:3], v[5:6], off
.LBB9_600:
	s_mov_b32 s7, 0
.LBB9_601:
	s_andn2_b32 vcc_lo, exec_lo, s7
	s_cbranch_vccnz .LBB9_603
; %bb.602:
	v_and_or_b32 v5, 0x1ff, v45, v44
	v_lshrrev_b32_e32 v6, 8, v45
	v_bfe_u32 v7, v45, 20, 11
	v_cmp_ne_u32_e32 vcc_lo, 0, v5
	v_sub_nc_u32_e32 v8, 0x3f1, v7
	v_add_nc_u32_e32 v7, 0xfffffc10, v7
	v_cndmask_b32_e64 v5, 0, 1, vcc_lo
	v_and_or_b32 v5, 0xffe, v6, v5
	v_med3_i32 v6, v8, 0, 13
	v_or_b32_e32 v8, 0x1000, v5
	v_lshrrev_b32_e32 v9, v6, v8
	v_lshlrev_b32_e32 v6, v6, v9
	v_cmp_ne_u32_e32 vcc_lo, v6, v8
	v_lshl_or_b32 v8, v7, 12, v5
	v_cndmask_b32_e64 v6, 0, 1, vcc_lo
	v_cmp_gt_i32_e32 vcc_lo, 1, v7
	v_or_b32_e32 v6, v9, v6
	v_cndmask_b32_e32 v6, v8, v6, vcc_lo
	v_and_b32_e32 v8, 7, v6
	v_lshrrev_b32_e32 v6, 2, v6
	v_cmp_lt_i32_e32 vcc_lo, 5, v8
	v_cndmask_b32_e64 v9, 0, 1, vcc_lo
	v_cmp_eq_u32_e32 vcc_lo, 3, v8
	v_cndmask_b32_e64 v8, 0, 1, vcc_lo
	v_cmp_ne_u32_e32 vcc_lo, 0, v5
	v_or_b32_e32 v8, v8, v9
	v_mov_b32_e32 v9, 0x7e00
	v_add_nc_u32_e32 v6, v6, v8
	v_cndmask_b32_e32 v5, 0x7c00, v9, vcc_lo
	v_cmp_gt_i32_e32 vcc_lo, 31, v7
	v_cndmask_b32_e32 v6, 0x7c00, v6, vcc_lo
	v_cmp_eq_u32_e32 vcc_lo, 0x40f, v7
	v_cndmask_b32_e32 v5, v6, v5, vcc_lo
	v_lshrrev_b32_e32 v6, 16, v45
	v_and_or_b32 v5, 0x8000, v6, v5
	v_and_b32_e32 v5, 0xffff, v5
	global_store_dword v[2:3], v5, off
.LBB9_603:
	s_mov_b32 s7, 0
.LBB9_604:
	s_andn2_b32 vcc_lo, exec_lo, s7
	s_cbranch_vccnz .LBB9_613
; %bb.605:
	s_cmp_lt_i32 s4, 6
	s_mov_b32 s7, -1
	s_cbranch_scc1 .LBB9_611
; %bb.606:
	s_cmp_gt_i32 s4, 6
	s_cbranch_scc0 .LBB9_608
; %bb.607:
	s_mov_b32 s7, 0
	global_store_dwordx2 v[2:3], v[44:45], off
.LBB9_608:
	s_andn2_b32 vcc_lo, exec_lo, s7
	s_cbranch_vccnz .LBB9_610
; %bb.609:
	v_cvt_f32_f64_e32 v5, v[44:45]
	global_store_dword v[2:3], v5, off
.LBB9_610:
	s_mov_b32 s7, 0
.LBB9_611:
	s_andn2_b32 vcc_lo, exec_lo, s7
	s_cbranch_vccnz .LBB9_613
; %bb.612:
	v_and_or_b32 v5, 0x1ff, v45, v44
	v_lshrrev_b32_e32 v6, 8, v45
	v_bfe_u32 v7, v45, 20, 11
	v_cmp_ne_u32_e32 vcc_lo, 0, v5
	v_sub_nc_u32_e32 v8, 0x3f1, v7
	v_add_nc_u32_e32 v7, 0xfffffc10, v7
	v_cndmask_b32_e64 v5, 0, 1, vcc_lo
	v_and_or_b32 v5, 0xffe, v6, v5
	v_med3_i32 v6, v8, 0, 13
	v_or_b32_e32 v8, 0x1000, v5
	v_lshrrev_b32_e32 v9, v6, v8
	v_lshlrev_b32_e32 v6, v6, v9
	v_cmp_ne_u32_e32 vcc_lo, v6, v8
	v_lshl_or_b32 v8, v7, 12, v5
	v_cndmask_b32_e64 v6, 0, 1, vcc_lo
	v_cmp_gt_i32_e32 vcc_lo, 1, v7
	v_or_b32_e32 v6, v9, v6
	v_cndmask_b32_e32 v6, v8, v6, vcc_lo
	v_and_b32_e32 v8, 7, v6
	v_lshrrev_b32_e32 v6, 2, v6
	v_cmp_lt_i32_e32 vcc_lo, 5, v8
	v_cndmask_b32_e64 v9, 0, 1, vcc_lo
	v_cmp_eq_u32_e32 vcc_lo, 3, v8
	v_cndmask_b32_e64 v8, 0, 1, vcc_lo
	v_cmp_ne_u32_e32 vcc_lo, 0, v5
	v_or_b32_e32 v8, v8, v9
	v_mov_b32_e32 v9, 0x7e00
	v_add_nc_u32_e32 v6, v6, v8
	v_cndmask_b32_e32 v5, 0x7c00, v9, vcc_lo
	v_cmp_gt_i32_e32 vcc_lo, 31, v7
	v_cndmask_b32_e32 v6, 0x7c00, v6, vcc_lo
	v_cmp_eq_u32_e32 vcc_lo, 0x40f, v7
	v_cndmask_b32_e32 v5, v6, v5, vcc_lo
	v_lshrrev_b32_e32 v6, 16, v45
	v_and_or_b32 v5, 0x8000, v6, v5
	global_store_short v[2:3], v5, off
.LBB9_613:
	s_mov_b32 s7, 0
.LBB9_614:
	s_andn2_b32 vcc_lo, exec_lo, s7
	s_cbranch_vccnz .LBB9_630
; %bb.615:
	s_cmp_lt_i32 s4, 2
	s_mov_b32 s7, -1
	s_cbranch_scc1 .LBB9_625
; %bb.616:
	s_cmp_lt_i32 s4, 3
	s_cbranch_scc1 .LBB9_622
; %bb.617:
	s_cmp_gt_i32 s4, 3
	s_cbranch_scc0 .LBB9_619
; %bb.618:
	v_trunc_f64_e32 v[5:6], v[44:45]
	s_mov_b32 s7, 0
	v_ldexp_f64 v[7:8], v[5:6], 0xffffffe0
	v_floor_f64_e32 v[7:8], v[7:8]
	v_fma_f64 v[5:6], 0xc1f00000, v[7:8], v[5:6]
	v_cvt_i32_f64_e32 v7, v[7:8]
	v_cvt_u32_f64_e32 v6, v[5:6]
	global_store_dwordx2 v[2:3], v[6:7], off
.LBB9_619:
	s_andn2_b32 vcc_lo, exec_lo, s7
	s_cbranch_vccnz .LBB9_621
; %bb.620:
	v_cvt_i32_f64_e32 v5, v[44:45]
	global_store_dword v[2:3], v5, off
.LBB9_621:
	s_mov_b32 s7, 0
.LBB9_622:
	s_andn2_b32 vcc_lo, exec_lo, s7
	s_cbranch_vccnz .LBB9_624
; %bb.623:
	v_cvt_i32_f64_e32 v5, v[44:45]
	global_store_short v[2:3], v5, off
.LBB9_624:
	s_mov_b32 s7, 0
.LBB9_625:
	s_andn2_b32 vcc_lo, exec_lo, s7
	s_cbranch_vccnz .LBB9_630
; %bb.626:
	s_cmp_gt_i32 s4, 0
	s_mov_b32 s4, -1
	s_cbranch_scc0 .LBB9_628
; %bb.627:
	v_cvt_i32_f64_e32 v5, v[44:45]
	s_mov_b32 s4, 0
	global_store_byte v[2:3], v5, off
.LBB9_628:
	s_andn2_b32 vcc_lo, exec_lo, s4
	s_cbranch_vccnz .LBB9_630
; %bb.629:
	v_trunc_f64_e32 v[5:6], v[44:45]
	v_ldexp_f64 v[7:8], v[5:6], 0xffffffe0
	v_floor_f64_e32 v[7:8], v[7:8]
	v_fma_f64 v[5:6], 0xc1f00000, v[7:8], v[5:6]
	v_cvt_u32_f64_e32 v5, v[5:6]
	global_store_byte v[2:3], v5, off
.LBB9_630:
.LBB9_631:
	s_lshl_b32 s7, s26, 7
	s_cmp_lt_i32 s5, 11
	v_add_nc_u32_e32 v4, s7, v4
	v_ashrrev_i32_e32 v3, 31, v4
	v_add_co_u32 v2, vcc_lo, s36, v4
	v_add_co_ci_u32_e64 v3, null, s37, v3, vcc_lo
	s_cbranch_scc1 .LBB9_710
; %bb.632:
	s_and_b32 s8, 0xffff, s5
	s_mov_b32 s11, -1
	s_mov_b32 s9, 0
	s_cmp_gt_i32 s8, 25
	s_mov_b32 s10, 0
	s_mov_b32 s4, 0
	s_cbranch_scc0 .LBB9_665
; %bb.633:
	s_cmp_gt_i32 s8, 28
	s_cbranch_scc0 .LBB9_648
; %bb.634:
	s_cmp_gt_i32 s8, 43
	;; [unrolled: 3-line block ×3, first 2 shown]
	s_cbranch_scc0 .LBB9_638
; %bb.636:
	s_mov_b32 s4, -1
	s_mov_b32 s11, 0
	s_cmp_eq_u32 s8, 46
	s_cbranch_scc0 .LBB9_638
; %bb.637:
	v_cvt_f32_f64_e32 v5, v[42:43]
	s_mov_b32 s4, 0
	s_mov_b32 s10, -1
	v_bfe_u32 v6, v5, 16, 1
	v_cmp_o_f32_e32 vcc_lo, v5, v5
	v_add3_u32 v5, v5, v6, 0x7fff
	v_mov_b32_e32 v6, 0x7fc0
	v_cndmask_b32_sdwa v5, v6, v5, vcc_lo dst_sel:DWORD dst_unused:UNUSED_PAD src0_sel:DWORD src1_sel:WORD_1
	global_store_dword v[2:3], v5, off
.LBB9_638:
	s_and_b32 vcc_lo, exec_lo, s11
	s_cbranch_vccz .LBB9_643
; %bb.639:
	s_cmp_eq_u32 s8, 44
	s_mov_b32 s4, -1
	s_cbranch_scc0 .LBB9_643
; %bb.640:
	v_cvt_f32_f64_e32 v5, v[42:43]
	v_mov_b32_e32 v6, 0xff
	s_mov_b32 s10, exec_lo
	v_bfe_u32 v7, v5, 23, 8
	v_cmpx_ne_u32_e32 0xff, v7
	s_cbranch_execz .LBB9_642
; %bb.641:
	v_and_b32_e32 v6, 0x400000, v5
	v_and_or_b32 v7, 0x3fffff, v5, v7
	v_lshrrev_b32_e32 v5, 23, v5
	v_cmp_ne_u32_e32 vcc_lo, 0, v6
	v_cmp_ne_u32_e64 s4, 0, v7
	s_and_b32 s4, vcc_lo, s4
	v_cndmask_b32_e64 v6, 0, 1, s4
	v_add_nc_u32_e32 v6, v5, v6
.LBB9_642:
	s_or_b32 exec_lo, exec_lo, s10
	s_mov_b32 s4, 0
	s_mov_b32 s10, -1
	global_store_byte v[2:3], v6, off
.LBB9_643:
	s_mov_b32 s11, 0
.LBB9_644:
	s_and_b32 vcc_lo, exec_lo, s11
	s_cbranch_vccz .LBB9_647
; %bb.645:
	s_cmp_eq_u32 s8, 29
	s_mov_b32 s4, -1
	s_cbranch_scc0 .LBB9_647
; %bb.646:
	v_trunc_f64_e32 v[5:6], v[42:43]
	s_mov_b32 s4, 0
	s_mov_b32 s10, -1
	v_ldexp_f64 v[7:8], v[5:6], 0xffffffe0
	v_floor_f64_e32 v[7:8], v[7:8]
	v_fma_f64 v[5:6], 0xc1f00000, v[7:8], v[5:6]
	v_cvt_u32_f64_e32 v7, v[7:8]
	v_cvt_u32_f64_e32 v6, v[5:6]
	global_store_dwordx2 v[2:3], v[6:7], off
.LBB9_647:
	s_mov_b32 s11, 0
.LBB9_648:
	s_and_b32 vcc_lo, exec_lo, s11
	s_cbranch_vccz .LBB9_664
; %bb.649:
	s_cmp_lt_i32 s8, 27
	s_mov_b32 s10, -1
	s_cbranch_scc1 .LBB9_655
; %bb.650:
	v_cvt_u32_f64_e32 v5, v[42:43]
	s_cmp_gt_i32 s8, 27
	s_cbranch_scc0 .LBB9_652
; %bb.651:
	s_mov_b32 s10, 0
	global_store_dword v[2:3], v5, off
.LBB9_652:
	s_andn2_b32 vcc_lo, exec_lo, s10
	s_cbranch_vccnz .LBB9_654
; %bb.653:
	global_store_short v[2:3], v5, off
.LBB9_654:
	s_mov_b32 s10, 0
.LBB9_655:
	s_andn2_b32 vcc_lo, exec_lo, s10
	s_cbranch_vccnz .LBB9_663
; %bb.656:
	v_cvt_f32_f64_e32 v5, v[42:43]
	v_mov_b32_e32 v7, 0x80
	s_mov_b32 s10, exec_lo
	v_and_b32_e32 v6, 0x7fffffff, v5
	v_cmpx_gt_u32_e32 0x43800000, v6
	s_cbranch_execz .LBB9_662
; %bb.657:
	v_cmp_lt_u32_e32 vcc_lo, 0x3bffffff, v6
	s_mov_b32 s11, 0
                                        ; implicit-def: $vgpr6
	s_and_saveexec_b32 s12, vcc_lo
	s_xor_b32 s12, exec_lo, s12
	s_cbranch_execz .LBB9_994
; %bb.658:
	v_bfe_u32 v6, v5, 20, 1
	s_mov_b32 s11, exec_lo
	v_add3_u32 v6, v5, v6, 0x487ffff
	v_lshrrev_b32_e32 v6, 20, v6
	s_andn2_saveexec_b32 s12, s12
	s_cbranch_execnz .LBB9_995
.LBB9_659:
	s_or_b32 exec_lo, exec_lo, s12
	v_mov_b32_e32 v7, 0
	s_and_saveexec_b32 s12, s11
.LBB9_660:
	v_lshrrev_b32_e32 v5, 24, v5
	v_and_or_b32 v7, 0x80, v5, v6
.LBB9_661:
	s_or_b32 exec_lo, exec_lo, s12
.LBB9_662:
	s_or_b32 exec_lo, exec_lo, s10
	global_store_byte v[2:3], v7, off
.LBB9_663:
	s_mov_b32 s10, -1
.LBB9_664:
	s_mov_b32 s11, 0
.LBB9_665:
	s_and_b32 vcc_lo, exec_lo, s11
	s_cbranch_vccz .LBB9_705
; %bb.666:
	s_cmp_gt_i32 s8, 22
	s_mov_b32 s9, -1
	s_cbranch_scc0 .LBB9_698
; %bb.667:
	s_cmp_lt_i32 s8, 24
	s_cbranch_scc1 .LBB9_687
; %bb.668:
	s_cmp_gt_i32 s8, 24
	s_cbranch_scc0 .LBB9_676
; %bb.669:
	v_cvt_f32_f64_e32 v5, v[42:43]
	v_mov_b32_e32 v7, 0x80
	s_mov_b32 s9, exec_lo
	v_and_b32_e32 v6, 0x7fffffff, v5
	v_cmpx_gt_u32_e32 0x47800000, v6
	s_cbranch_execz .LBB9_675
; %bb.670:
	v_cmp_lt_u32_e32 vcc_lo, 0x37ffffff, v6
	s_mov_b32 s10, 0
                                        ; implicit-def: $vgpr6
	s_and_saveexec_b32 s11, vcc_lo
	s_xor_b32 s11, exec_lo, s11
	s_cbranch_execz .LBB9_997
; %bb.671:
	v_bfe_u32 v6, v5, 21, 1
	s_mov_b32 s10, exec_lo
	v_add3_u32 v6, v5, v6, 0x88fffff
	v_lshrrev_b32_e32 v6, 21, v6
	s_andn2_saveexec_b32 s11, s11
	s_cbranch_execnz .LBB9_998
.LBB9_672:
	s_or_b32 exec_lo, exec_lo, s11
	v_mov_b32_e32 v7, 0
	s_and_saveexec_b32 s11, s10
.LBB9_673:
	v_lshrrev_b32_e32 v5, 24, v5
	v_and_or_b32 v7, 0x80, v5, v6
.LBB9_674:
	s_or_b32 exec_lo, exec_lo, s11
.LBB9_675:
	s_or_b32 exec_lo, exec_lo, s9
	s_mov_b32 s9, 0
	global_store_byte v[2:3], v7, off
.LBB9_676:
	s_and_b32 vcc_lo, exec_lo, s9
	s_cbranch_vccz .LBB9_686
; %bb.677:
	v_cvt_f32_f64_e32 v5, v[42:43]
	s_mov_b32 s9, exec_lo
                                        ; implicit-def: $vgpr6
	v_and_b32_e32 v7, 0x7fffffff, v5
	v_cmpx_gt_u32_e32 0x43f00000, v7
	s_xor_b32 s9, exec_lo, s9
	s_cbranch_execz .LBB9_683
; %bb.678:
	s_mov_b32 s10, exec_lo
                                        ; implicit-def: $vgpr6
	v_cmpx_lt_u32_e32 0x3c7fffff, v7
	s_xor_b32 s10, exec_lo, s10
; %bb.679:
	v_bfe_u32 v6, v5, 20, 1
	v_add3_u32 v6, v5, v6, 0x407ffff
	v_and_b32_e32 v7, 0xff00000, v6
	v_lshrrev_b32_e32 v6, 20, v6
	v_cmp_ne_u32_e32 vcc_lo, 0x7f00000, v7
	v_cndmask_b32_e32 v6, 0x7e, v6, vcc_lo
; %bb.680:
	s_andn2_saveexec_b32 s10, s10
; %bb.681:
	v_add_f32_e64 v6, 0x46800000, |v5|
; %bb.682:
	s_or_b32 exec_lo, exec_lo, s10
                                        ; implicit-def: $vgpr7
.LBB9_683:
	s_andn2_saveexec_b32 s9, s9
; %bb.684:
	v_mov_b32_e32 v6, 0x7f
	v_cmp_lt_u32_e32 vcc_lo, 0x7f800000, v7
	v_cndmask_b32_e32 v6, 0x7e, v6, vcc_lo
; %bb.685:
	s_or_b32 exec_lo, exec_lo, s9
	v_lshrrev_b32_e32 v5, 24, v5
	v_and_or_b32 v5, 0x80, v5, v6
	global_store_byte v[2:3], v5, off
.LBB9_686:
	s_mov_b32 s9, 0
.LBB9_687:
	s_andn2_b32 vcc_lo, exec_lo, s9
	s_cbranch_vccnz .LBB9_697
; %bb.688:
	v_cvt_f32_f64_e32 v5, v[42:43]
	s_mov_b32 s9, exec_lo
                                        ; implicit-def: $vgpr6
	v_and_b32_e32 v7, 0x7fffffff, v5
	v_cmpx_gt_u32_e32 0x47800000, v7
	s_xor_b32 s9, exec_lo, s9
	s_cbranch_execz .LBB9_694
; %bb.689:
	s_mov_b32 s10, exec_lo
                                        ; implicit-def: $vgpr6
	v_cmpx_lt_u32_e32 0x387fffff, v7
	s_xor_b32 s10, exec_lo, s10
; %bb.690:
	v_bfe_u32 v6, v5, 21, 1
	v_add3_u32 v6, v5, v6, 0x80fffff
	v_lshrrev_b32_e32 v6, 21, v6
; %bb.691:
	s_andn2_saveexec_b32 s10, s10
; %bb.692:
	v_add_f32_e64 v6, 0x43000000, |v5|
; %bb.693:
	s_or_b32 exec_lo, exec_lo, s10
                                        ; implicit-def: $vgpr7
.LBB9_694:
	s_andn2_saveexec_b32 s9, s9
; %bb.695:
	v_mov_b32_e32 v6, 0x7f
	v_cmp_lt_u32_e32 vcc_lo, 0x7f800000, v7
	v_cndmask_b32_e32 v6, 0x7c, v6, vcc_lo
; %bb.696:
	s_or_b32 exec_lo, exec_lo, s9
	v_lshrrev_b32_e32 v5, 24, v5
	v_and_or_b32 v5, 0x80, v5, v6
	global_store_byte v[2:3], v5, off
.LBB9_697:
	s_mov_b32 s9, 0
	s_mov_b32 s10, -1
.LBB9_698:
	s_andn2_b32 vcc_lo, exec_lo, s9
	s_mov_b32 s9, 0
	s_cbranch_vccnz .LBB9_705
; %bb.699:
	s_cmp_gt_i32 s8, 14
	s_mov_b32 s9, -1
	s_cbranch_scc0 .LBB9_703
; %bb.700:
	s_cmp_eq_u32 s8, 15
	s_mov_b32 s4, -1
	s_cbranch_scc0 .LBB9_702
; %bb.701:
	v_cvt_f32_f64_e32 v5, v[42:43]
	s_mov_b32 s4, 0
	s_mov_b32 s10, -1
	v_bfe_u32 v6, v5, 16, 1
	v_cmp_o_f32_e32 vcc_lo, v5, v5
	v_add3_u32 v5, v5, v6, 0x7fff
	v_mov_b32_e32 v6, 0x7fc0
	v_cndmask_b32_sdwa v5, v6, v5, vcc_lo dst_sel:DWORD dst_unused:UNUSED_PAD src0_sel:DWORD src1_sel:WORD_1
	global_store_short v[2:3], v5, off
.LBB9_702:
	s_mov_b32 s9, 0
.LBB9_703:
	s_and_b32 vcc_lo, exec_lo, s9
	s_mov_b32 s9, 0
	s_cbranch_vccz .LBB9_705
; %bb.704:
	s_cmp_lg_u32 s8, 11
	s_mov_b32 s9, -1
	s_cselect_b32 s4, -1, 0
.LBB9_705:
	s_and_b32 vcc_lo, exec_lo, s4
	s_cbranch_vccnz .LBB9_996
; %bb.706:
	s_andn2_b32 vcc_lo, exec_lo, s9
	s_cbranch_vccnz .LBB9_708
.LBB9_707:
	v_cmp_neq_f64_e32 vcc_lo, 0, v[42:43]
	s_mov_b32 s10, -1
	v_cndmask_b32_e64 v5, 0, 1, vcc_lo
	global_store_byte v[2:3], v5, off
.LBB9_708:
.LBB9_709:
	s_andn2_b32 vcc_lo, exec_lo, s10
	s_cbranch_vccz .LBB9_749
	s_branch .LBB9_943
.LBB9_710:
	s_mov_b32 s10, 0
	s_cbranch_execz .LBB9_709
; %bb.711:
	s_and_b32 s4, 0xffff, s5
	s_mov_b32 s8, -1
	s_cmp_lt_i32 s4, 5
	s_cbranch_scc1 .LBB9_732
; %bb.712:
	s_cmp_lt_i32 s4, 8
	s_cbranch_scc1 .LBB9_722
; %bb.713:
	;; [unrolled: 3-line block ×3, first 2 shown]
	s_cmp_gt_i32 s4, 9
	s_cbranch_scc0 .LBB9_716
; %bb.715:
	v_mov_b32_e32 v44, 0
	s_mov_b32 s8, 0
	v_mov_b32_e32 v45, v44
	global_store_dwordx4 v[2:3], v[42:45], off
.LBB9_716:
	s_andn2_b32 vcc_lo, exec_lo, s8
	s_cbranch_vccnz .LBB9_718
; %bb.717:
	v_cvt_f32_f64_e32 v5, v[42:43]
	v_mov_b32_e32 v6, 0
	global_store_dwordx2 v[2:3], v[5:6], off
.LBB9_718:
	s_mov_b32 s8, 0
.LBB9_719:
	s_andn2_b32 vcc_lo, exec_lo, s8
	s_cbranch_vccnz .LBB9_721
; %bb.720:
	v_and_or_b32 v5, 0x1ff, v43, v42
	v_lshrrev_b32_e32 v6, 8, v43
	v_bfe_u32 v7, v43, 20, 11
	v_cmp_ne_u32_e32 vcc_lo, 0, v5
	v_sub_nc_u32_e32 v8, 0x3f1, v7
	v_add_nc_u32_e32 v7, 0xfffffc10, v7
	v_cndmask_b32_e64 v5, 0, 1, vcc_lo
	v_and_or_b32 v5, 0xffe, v6, v5
	v_med3_i32 v6, v8, 0, 13
	v_or_b32_e32 v8, 0x1000, v5
	v_lshrrev_b32_e32 v9, v6, v8
	v_lshlrev_b32_e32 v6, v6, v9
	v_cmp_ne_u32_e32 vcc_lo, v6, v8
	v_lshl_or_b32 v8, v7, 12, v5
	v_cndmask_b32_e64 v6, 0, 1, vcc_lo
	v_cmp_gt_i32_e32 vcc_lo, 1, v7
	v_or_b32_e32 v6, v9, v6
	v_cndmask_b32_e32 v6, v8, v6, vcc_lo
	v_and_b32_e32 v8, 7, v6
	v_lshrrev_b32_e32 v6, 2, v6
	v_cmp_lt_i32_e32 vcc_lo, 5, v8
	v_cndmask_b32_e64 v9, 0, 1, vcc_lo
	v_cmp_eq_u32_e32 vcc_lo, 3, v8
	v_cndmask_b32_e64 v8, 0, 1, vcc_lo
	v_cmp_ne_u32_e32 vcc_lo, 0, v5
	v_or_b32_e32 v8, v8, v9
	v_mov_b32_e32 v9, 0x7e00
	v_add_nc_u32_e32 v6, v6, v8
	v_cndmask_b32_e32 v5, 0x7c00, v9, vcc_lo
	v_cmp_gt_i32_e32 vcc_lo, 31, v7
	v_cndmask_b32_e32 v6, 0x7c00, v6, vcc_lo
	v_cmp_eq_u32_e32 vcc_lo, 0x40f, v7
	v_cndmask_b32_e32 v5, v6, v5, vcc_lo
	v_lshrrev_b32_e32 v6, 16, v43
	v_and_or_b32 v5, 0x8000, v6, v5
	v_and_b32_e32 v5, 0xffff, v5
	global_store_dword v[2:3], v5, off
.LBB9_721:
	s_mov_b32 s8, 0
.LBB9_722:
	s_andn2_b32 vcc_lo, exec_lo, s8
	s_cbranch_vccnz .LBB9_731
; %bb.723:
	s_cmp_lt_i32 s4, 6
	s_mov_b32 s8, -1
	s_cbranch_scc1 .LBB9_729
; %bb.724:
	s_cmp_gt_i32 s4, 6
	s_cbranch_scc0 .LBB9_726
; %bb.725:
	s_mov_b32 s8, 0
	global_store_dwordx2 v[2:3], v[42:43], off
.LBB9_726:
	s_andn2_b32 vcc_lo, exec_lo, s8
	s_cbranch_vccnz .LBB9_728
; %bb.727:
	v_cvt_f32_f64_e32 v5, v[42:43]
	global_store_dword v[2:3], v5, off
.LBB9_728:
	s_mov_b32 s8, 0
.LBB9_729:
	s_andn2_b32 vcc_lo, exec_lo, s8
	s_cbranch_vccnz .LBB9_731
; %bb.730:
	v_and_or_b32 v5, 0x1ff, v43, v42
	v_lshrrev_b32_e32 v6, 8, v43
	v_bfe_u32 v7, v43, 20, 11
	v_cmp_ne_u32_e32 vcc_lo, 0, v5
	v_sub_nc_u32_e32 v8, 0x3f1, v7
	v_add_nc_u32_e32 v7, 0xfffffc10, v7
	v_cndmask_b32_e64 v5, 0, 1, vcc_lo
	v_and_or_b32 v5, 0xffe, v6, v5
	v_med3_i32 v6, v8, 0, 13
	v_or_b32_e32 v8, 0x1000, v5
	v_lshrrev_b32_e32 v9, v6, v8
	v_lshlrev_b32_e32 v6, v6, v9
	v_cmp_ne_u32_e32 vcc_lo, v6, v8
	v_lshl_or_b32 v8, v7, 12, v5
	v_cndmask_b32_e64 v6, 0, 1, vcc_lo
	v_cmp_gt_i32_e32 vcc_lo, 1, v7
	v_or_b32_e32 v6, v9, v6
	v_cndmask_b32_e32 v6, v8, v6, vcc_lo
	v_and_b32_e32 v8, 7, v6
	v_lshrrev_b32_e32 v6, 2, v6
	v_cmp_lt_i32_e32 vcc_lo, 5, v8
	v_cndmask_b32_e64 v9, 0, 1, vcc_lo
	v_cmp_eq_u32_e32 vcc_lo, 3, v8
	v_cndmask_b32_e64 v8, 0, 1, vcc_lo
	v_cmp_ne_u32_e32 vcc_lo, 0, v5
	v_or_b32_e32 v8, v8, v9
	v_mov_b32_e32 v9, 0x7e00
	v_add_nc_u32_e32 v6, v6, v8
	v_cndmask_b32_e32 v5, 0x7c00, v9, vcc_lo
	v_cmp_gt_i32_e32 vcc_lo, 31, v7
	v_cndmask_b32_e32 v6, 0x7c00, v6, vcc_lo
	v_cmp_eq_u32_e32 vcc_lo, 0x40f, v7
	v_cndmask_b32_e32 v5, v6, v5, vcc_lo
	v_lshrrev_b32_e32 v6, 16, v43
	v_and_or_b32 v5, 0x8000, v6, v5
	global_store_short v[2:3], v5, off
.LBB9_731:
	s_mov_b32 s8, 0
.LBB9_732:
	s_andn2_b32 vcc_lo, exec_lo, s8
	s_cbranch_vccnz .LBB9_748
; %bb.733:
	s_cmp_lt_i32 s4, 2
	s_mov_b32 s8, -1
	s_cbranch_scc1 .LBB9_743
; %bb.734:
	s_cmp_lt_i32 s4, 3
	s_cbranch_scc1 .LBB9_740
; %bb.735:
	s_cmp_gt_i32 s4, 3
	s_cbranch_scc0 .LBB9_737
; %bb.736:
	v_trunc_f64_e32 v[5:6], v[42:43]
	s_mov_b32 s8, 0
	v_ldexp_f64 v[7:8], v[5:6], 0xffffffe0
	v_floor_f64_e32 v[7:8], v[7:8]
	v_fma_f64 v[5:6], 0xc1f00000, v[7:8], v[5:6]
	v_cvt_i32_f64_e32 v7, v[7:8]
	v_cvt_u32_f64_e32 v6, v[5:6]
	global_store_dwordx2 v[2:3], v[6:7], off
.LBB9_737:
	s_andn2_b32 vcc_lo, exec_lo, s8
	s_cbranch_vccnz .LBB9_739
; %bb.738:
	v_cvt_i32_f64_e32 v5, v[42:43]
	global_store_dword v[2:3], v5, off
.LBB9_739:
	s_mov_b32 s8, 0
.LBB9_740:
	s_andn2_b32 vcc_lo, exec_lo, s8
	s_cbranch_vccnz .LBB9_742
; %bb.741:
	v_cvt_i32_f64_e32 v5, v[42:43]
	global_store_short v[2:3], v5, off
.LBB9_742:
	s_mov_b32 s8, 0
.LBB9_743:
	s_andn2_b32 vcc_lo, exec_lo, s8
	s_cbranch_vccnz .LBB9_748
; %bb.744:
	s_cmp_gt_i32 s4, 0
	s_mov_b32 s4, -1
	s_cbranch_scc0 .LBB9_746
; %bb.745:
	v_cvt_i32_f64_e32 v5, v[42:43]
	s_mov_b32 s4, 0
	global_store_byte v[2:3], v5, off
.LBB9_746:
	s_andn2_b32 vcc_lo, exec_lo, s4
	s_cbranch_vccnz .LBB9_748
; %bb.747:
	v_trunc_f64_e32 v[5:6], v[42:43]
	v_ldexp_f64 v[7:8], v[5:6], 0xffffffe0
	v_floor_f64_e32 v[7:8], v[7:8]
	v_fma_f64 v[5:6], 0xc1f00000, v[7:8], v[5:6]
	v_cvt_u32_f64_e32 v5, v[5:6]
	global_store_byte v[2:3], v5, off
.LBB9_748:
.LBB9_749:
	v_add_nc_u32_e32 v4, s7, v4
	s_cmp_lt_i32 s5, 11
	v_ashrrev_i32_e32 v3, 31, v4
	v_add_co_u32 v2, vcc_lo, s36, v4
	v_add_co_ci_u32_e64 v3, null, s37, v3, vcc_lo
	s_cbranch_scc1 .LBB9_904
; %bb.750:
	s_and_b32 s8, 0xffff, s5
	s_mov_b32 s11, -1
	s_mov_b32 s9, 0
	s_cmp_gt_i32 s8, 25
	s_mov_b32 s10, 0
	s_mov_b32 s4, 0
	s_cbranch_scc0 .LBB9_783
; %bb.751:
	s_cmp_gt_i32 s8, 28
	s_cbranch_scc0 .LBB9_766
; %bb.752:
	s_cmp_gt_i32 s8, 43
	;; [unrolled: 3-line block ×3, first 2 shown]
	s_cbranch_scc0 .LBB9_756
; %bb.754:
	s_mov_b32 s4, -1
	s_mov_b32 s11, 0
	s_cmp_eq_u32 s8, 46
	s_cbranch_scc0 .LBB9_756
; %bb.755:
	v_cvt_f32_f64_e32 v5, v[40:41]
	s_mov_b32 s4, 0
	s_mov_b32 s10, -1
	v_bfe_u32 v6, v5, 16, 1
	v_cmp_o_f32_e32 vcc_lo, v5, v5
	v_add3_u32 v5, v5, v6, 0x7fff
	v_mov_b32_e32 v6, 0x7fc0
	v_cndmask_b32_sdwa v5, v6, v5, vcc_lo dst_sel:DWORD dst_unused:UNUSED_PAD src0_sel:DWORD src1_sel:WORD_1
	global_store_dword v[2:3], v5, off
.LBB9_756:
	s_and_b32 vcc_lo, exec_lo, s11
	s_cbranch_vccz .LBB9_761
; %bb.757:
	s_cmp_eq_u32 s8, 44
	s_mov_b32 s4, -1
	s_cbranch_scc0 .LBB9_761
; %bb.758:
	v_cvt_f32_f64_e32 v5, v[40:41]
	v_mov_b32_e32 v6, 0xff
	s_mov_b32 s10, exec_lo
	v_bfe_u32 v7, v5, 23, 8
	v_cmpx_ne_u32_e32 0xff, v7
	s_cbranch_execz .LBB9_760
; %bb.759:
	v_and_b32_e32 v6, 0x400000, v5
	v_and_or_b32 v7, 0x3fffff, v5, v7
	v_lshrrev_b32_e32 v5, 23, v5
	v_cmp_ne_u32_e32 vcc_lo, 0, v6
	v_cmp_ne_u32_e64 s4, 0, v7
	s_and_b32 s4, vcc_lo, s4
	v_cndmask_b32_e64 v6, 0, 1, s4
	v_add_nc_u32_e32 v6, v5, v6
.LBB9_760:
	s_or_b32 exec_lo, exec_lo, s10
	s_mov_b32 s4, 0
	s_mov_b32 s10, -1
	global_store_byte v[2:3], v6, off
.LBB9_761:
	s_mov_b32 s11, 0
.LBB9_762:
	s_and_b32 vcc_lo, exec_lo, s11
	s_cbranch_vccz .LBB9_765
; %bb.763:
	s_cmp_eq_u32 s8, 29
	s_mov_b32 s4, -1
	s_cbranch_scc0 .LBB9_765
; %bb.764:
	v_trunc_f64_e32 v[5:6], v[40:41]
	s_mov_b32 s4, 0
	s_mov_b32 s10, -1
	v_ldexp_f64 v[7:8], v[5:6], 0xffffffe0
	v_floor_f64_e32 v[7:8], v[7:8]
	v_fma_f64 v[5:6], 0xc1f00000, v[7:8], v[5:6]
	v_cvt_u32_f64_e32 v7, v[7:8]
	v_cvt_u32_f64_e32 v6, v[5:6]
	global_store_dwordx2 v[2:3], v[6:7], off
.LBB9_765:
	s_mov_b32 s11, 0
.LBB9_766:
	s_and_b32 vcc_lo, exec_lo, s11
	s_cbranch_vccz .LBB9_782
; %bb.767:
	s_cmp_lt_i32 s8, 27
	s_mov_b32 s10, -1
	s_cbranch_scc1 .LBB9_773
; %bb.768:
	v_cvt_u32_f64_e32 v5, v[40:41]
	s_cmp_gt_i32 s8, 27
	s_cbranch_scc0 .LBB9_770
; %bb.769:
	s_mov_b32 s10, 0
	global_store_dword v[2:3], v5, off
.LBB9_770:
	s_andn2_b32 vcc_lo, exec_lo, s10
	s_cbranch_vccnz .LBB9_772
; %bb.771:
	global_store_short v[2:3], v5, off
.LBB9_772:
	s_mov_b32 s10, 0
.LBB9_773:
	s_andn2_b32 vcc_lo, exec_lo, s10
	s_cbranch_vccnz .LBB9_781
; %bb.774:
	v_cvt_f32_f64_e32 v5, v[40:41]
	v_mov_b32_e32 v7, 0x80
	s_mov_b32 s10, exec_lo
	v_and_b32_e32 v6, 0x7fffffff, v5
	v_cmpx_gt_u32_e32 0x43800000, v6
	s_cbranch_execz .LBB9_780
; %bb.775:
	v_cmp_lt_u32_e32 vcc_lo, 0x3bffffff, v6
	s_mov_b32 s11, 0
                                        ; implicit-def: $vgpr6
	s_and_saveexec_b32 s12, vcc_lo
	s_xor_b32 s12, exec_lo, s12
	s_cbranch_execz .LBB9_999
; %bb.776:
	v_bfe_u32 v6, v5, 20, 1
	s_mov_b32 s11, exec_lo
	v_add3_u32 v6, v5, v6, 0x487ffff
	v_lshrrev_b32_e32 v6, 20, v6
	s_andn2_saveexec_b32 s12, s12
	s_cbranch_execnz .LBB9_1000
.LBB9_777:
	s_or_b32 exec_lo, exec_lo, s12
	v_mov_b32_e32 v7, 0
	s_and_saveexec_b32 s12, s11
.LBB9_778:
	v_lshrrev_b32_e32 v5, 24, v5
	v_and_or_b32 v7, 0x80, v5, v6
.LBB9_779:
	s_or_b32 exec_lo, exec_lo, s12
.LBB9_780:
	s_or_b32 exec_lo, exec_lo, s10
	global_store_byte v[2:3], v7, off
.LBB9_781:
	s_mov_b32 s10, -1
.LBB9_782:
	s_mov_b32 s11, 0
.LBB9_783:
	s_and_b32 vcc_lo, exec_lo, s11
	s_cbranch_vccz .LBB9_823
; %bb.784:
	s_cmp_gt_i32 s8, 22
	s_mov_b32 s9, -1
	s_cbranch_scc0 .LBB9_816
; %bb.785:
	s_cmp_lt_i32 s8, 24
	s_cbranch_scc1 .LBB9_805
; %bb.786:
	s_cmp_gt_i32 s8, 24
	s_cbranch_scc0 .LBB9_794
; %bb.787:
	v_cvt_f32_f64_e32 v5, v[40:41]
	v_mov_b32_e32 v7, 0x80
	s_mov_b32 s9, exec_lo
	v_and_b32_e32 v6, 0x7fffffff, v5
	v_cmpx_gt_u32_e32 0x47800000, v6
	s_cbranch_execz .LBB9_793
; %bb.788:
	v_cmp_lt_u32_e32 vcc_lo, 0x37ffffff, v6
	s_mov_b32 s10, 0
                                        ; implicit-def: $vgpr6
	s_and_saveexec_b32 s11, vcc_lo
	s_xor_b32 s11, exec_lo, s11
	s_cbranch_execz .LBB9_1002
; %bb.789:
	v_bfe_u32 v6, v5, 21, 1
	s_mov_b32 s10, exec_lo
	v_add3_u32 v6, v5, v6, 0x88fffff
	v_lshrrev_b32_e32 v6, 21, v6
	s_andn2_saveexec_b32 s11, s11
	s_cbranch_execnz .LBB9_1003
.LBB9_790:
	s_or_b32 exec_lo, exec_lo, s11
	v_mov_b32_e32 v7, 0
	s_and_saveexec_b32 s11, s10
.LBB9_791:
	v_lshrrev_b32_e32 v5, 24, v5
	v_and_or_b32 v7, 0x80, v5, v6
.LBB9_792:
	s_or_b32 exec_lo, exec_lo, s11
.LBB9_793:
	s_or_b32 exec_lo, exec_lo, s9
	s_mov_b32 s9, 0
	global_store_byte v[2:3], v7, off
.LBB9_794:
	s_and_b32 vcc_lo, exec_lo, s9
	s_cbranch_vccz .LBB9_804
; %bb.795:
	v_cvt_f32_f64_e32 v5, v[40:41]
	s_mov_b32 s9, exec_lo
                                        ; implicit-def: $vgpr6
	v_and_b32_e32 v7, 0x7fffffff, v5
	v_cmpx_gt_u32_e32 0x43f00000, v7
	s_xor_b32 s9, exec_lo, s9
	s_cbranch_execz .LBB9_801
; %bb.796:
	s_mov_b32 s10, exec_lo
                                        ; implicit-def: $vgpr6
	v_cmpx_lt_u32_e32 0x3c7fffff, v7
	s_xor_b32 s10, exec_lo, s10
; %bb.797:
	v_bfe_u32 v6, v5, 20, 1
	v_add3_u32 v6, v5, v6, 0x407ffff
	v_and_b32_e32 v7, 0xff00000, v6
	v_lshrrev_b32_e32 v6, 20, v6
	v_cmp_ne_u32_e32 vcc_lo, 0x7f00000, v7
	v_cndmask_b32_e32 v6, 0x7e, v6, vcc_lo
; %bb.798:
	s_andn2_saveexec_b32 s10, s10
; %bb.799:
	v_add_f32_e64 v6, 0x46800000, |v5|
; %bb.800:
	s_or_b32 exec_lo, exec_lo, s10
                                        ; implicit-def: $vgpr7
.LBB9_801:
	s_andn2_saveexec_b32 s9, s9
; %bb.802:
	v_mov_b32_e32 v6, 0x7f
	v_cmp_lt_u32_e32 vcc_lo, 0x7f800000, v7
	v_cndmask_b32_e32 v6, 0x7e, v6, vcc_lo
; %bb.803:
	s_or_b32 exec_lo, exec_lo, s9
	v_lshrrev_b32_e32 v5, 24, v5
	v_and_or_b32 v5, 0x80, v5, v6
	global_store_byte v[2:3], v5, off
.LBB9_804:
	s_mov_b32 s9, 0
.LBB9_805:
	s_andn2_b32 vcc_lo, exec_lo, s9
	s_cbranch_vccnz .LBB9_815
; %bb.806:
	v_cvt_f32_f64_e32 v5, v[40:41]
	s_mov_b32 s9, exec_lo
                                        ; implicit-def: $vgpr6
	v_and_b32_e32 v7, 0x7fffffff, v5
	v_cmpx_gt_u32_e32 0x47800000, v7
	s_xor_b32 s9, exec_lo, s9
	s_cbranch_execz .LBB9_812
; %bb.807:
	s_mov_b32 s10, exec_lo
                                        ; implicit-def: $vgpr6
	v_cmpx_lt_u32_e32 0x387fffff, v7
	s_xor_b32 s10, exec_lo, s10
; %bb.808:
	v_bfe_u32 v6, v5, 21, 1
	v_add3_u32 v6, v5, v6, 0x80fffff
	v_lshrrev_b32_e32 v6, 21, v6
; %bb.809:
	s_andn2_saveexec_b32 s10, s10
; %bb.810:
	v_add_f32_e64 v6, 0x43000000, |v5|
; %bb.811:
	s_or_b32 exec_lo, exec_lo, s10
                                        ; implicit-def: $vgpr7
.LBB9_812:
	s_andn2_saveexec_b32 s9, s9
; %bb.813:
	v_mov_b32_e32 v6, 0x7f
	v_cmp_lt_u32_e32 vcc_lo, 0x7f800000, v7
	v_cndmask_b32_e32 v6, 0x7c, v6, vcc_lo
; %bb.814:
	s_or_b32 exec_lo, exec_lo, s9
	v_lshrrev_b32_e32 v5, 24, v5
	v_and_or_b32 v5, 0x80, v5, v6
	global_store_byte v[2:3], v5, off
.LBB9_815:
	s_mov_b32 s9, 0
	s_mov_b32 s10, -1
.LBB9_816:
	s_andn2_b32 vcc_lo, exec_lo, s9
	s_mov_b32 s9, 0
	s_cbranch_vccnz .LBB9_823
; %bb.817:
	s_cmp_gt_i32 s8, 14
	s_mov_b32 s9, -1
	s_cbranch_scc0 .LBB9_821
; %bb.818:
	s_cmp_eq_u32 s8, 15
	s_mov_b32 s4, -1
	s_cbranch_scc0 .LBB9_820
; %bb.819:
	v_cvt_f32_f64_e32 v5, v[40:41]
	s_mov_b32 s4, 0
	s_mov_b32 s10, -1
	v_bfe_u32 v6, v5, 16, 1
	v_cmp_o_f32_e32 vcc_lo, v5, v5
	v_add3_u32 v5, v5, v6, 0x7fff
	v_mov_b32_e32 v6, 0x7fc0
	v_cndmask_b32_sdwa v5, v6, v5, vcc_lo dst_sel:DWORD dst_unused:UNUSED_PAD src0_sel:DWORD src1_sel:WORD_1
	global_store_short v[2:3], v5, off
.LBB9_820:
	s_mov_b32 s9, 0
.LBB9_821:
	s_and_b32 vcc_lo, exec_lo, s9
	s_mov_b32 s9, 0
	s_cbranch_vccz .LBB9_823
; %bb.822:
	s_cmp_lg_u32 s8, 11
	s_mov_b32 s9, -1
	s_cselect_b32 s4, -1, 0
.LBB9_823:
	s_and_b32 vcc_lo, exec_lo, s4
	s_cbranch_vccnz .LBB9_1001
; %bb.824:
	s_andn2_b32 vcc_lo, exec_lo, s9
	s_cbranch_vccnz .LBB9_826
.LBB9_825:
	v_cmp_neq_f64_e32 vcc_lo, 0, v[40:41]
	s_mov_b32 s10, -1
	v_cndmask_b32_e64 v5, 0, 1, vcc_lo
	global_store_byte v[2:3], v5, off
.LBB9_826:
.LBB9_827:
	s_andn2_b32 vcc_lo, exec_lo, s10
	s_cbranch_vccnz .LBB9_943
.LBB9_828:
	v_add_nc_u32_e32 v2, s7, v4
	s_cmp_lt_i32 s5, 11
	v_ashrrev_i32_e32 v3, 31, v2
	v_add_co_u32 v4, vcc_lo, s36, v2
	v_add_co_ci_u32_e64 v5, null, s37, v3, vcc_lo
	s_cbranch_scc1 .LBB9_988
; %bb.829:
	s_and_b32 s7, 0xffff, s5
	s_mov_b32 s9, -1
	s_mov_b32 s8, 0
	s_cmp_gt_i32 s7, 25
	s_mov_b32 s4, 0
	s_cbranch_scc0 .LBB9_862
; %bb.830:
	s_cmp_gt_i32 s7, 28
	s_cbranch_scc0 .LBB9_846
; %bb.831:
	s_cmp_gt_i32 s7, 43
	s_cbranch_scc0 .LBB9_842
; %bb.832:
	s_cmp_gt_i32 s7, 45
	s_cbranch_scc0 .LBB9_836
; %bb.833:
	s_cmp_eq_u32 s7, 46
	s_mov_b32 s4, -1
	s_cbranch_scc0 .LBB9_835
; %bb.834:
	v_cvt_f32_f64_e32 v2, v[0:1]
	s_mov_b32 s4, 0
	v_bfe_u32 v3, v2, 16, 1
	v_cmp_o_f32_e32 vcc_lo, v2, v2
	v_add3_u32 v2, v2, v3, 0x7fff
	v_mov_b32_e32 v3, 0x7fc0
	v_cndmask_b32_sdwa v2, v3, v2, vcc_lo dst_sel:DWORD dst_unused:UNUSED_PAD src0_sel:DWORD src1_sel:WORD_1
	global_store_dword v[4:5], v2, off
.LBB9_835:
	s_mov_b32 s9, 0
.LBB9_836:
	s_and_b32 vcc_lo, exec_lo, s9
	s_cbranch_vccz .LBB9_841
; %bb.837:
	s_cmp_eq_u32 s7, 44
	s_mov_b32 s4, -1
	s_cbranch_scc0 .LBB9_841
; %bb.838:
	v_cvt_f32_f64_e32 v2, v[0:1]
	v_mov_b32_e32 v3, 0xff
	s_mov_b32 s9, exec_lo
	v_bfe_u32 v6, v2, 23, 8
	v_cmpx_ne_u32_e32 0xff, v6
	s_cbranch_execz .LBB9_840
; %bb.839:
	v_and_b32_e32 v3, 0x400000, v2
	v_and_or_b32 v6, 0x3fffff, v2, v6
	v_lshrrev_b32_e32 v2, 23, v2
	v_cmp_ne_u32_e32 vcc_lo, 0, v3
	v_cmp_ne_u32_e64 s4, 0, v6
	s_and_b32 s4, vcc_lo, s4
	v_cndmask_b32_e64 v3, 0, 1, s4
	v_add_nc_u32_e32 v3, v2, v3
.LBB9_840:
	s_or_b32 exec_lo, exec_lo, s9
	s_mov_b32 s4, 0
	global_store_byte v[4:5], v3, off
.LBB9_841:
	s_mov_b32 s9, 0
.LBB9_842:
	s_and_b32 vcc_lo, exec_lo, s9
	s_cbranch_vccz .LBB9_845
; %bb.843:
	s_cmp_eq_u32 s7, 29
	s_mov_b32 s4, -1
	s_cbranch_scc0 .LBB9_845
; %bb.844:
	v_trunc_f64_e32 v[2:3], v[0:1]
	s_mov_b32 s4, 0
	v_ldexp_f64 v[6:7], v[2:3], 0xffffffe0
	v_floor_f64_e32 v[6:7], v[6:7]
	v_fma_f64 v[2:3], 0xc1f00000, v[6:7], v[2:3]
	v_cvt_u32_f64_e32 v7, v[6:7]
	v_cvt_u32_f64_e32 v6, v[2:3]
	global_store_dwordx2 v[4:5], v[6:7], off
.LBB9_845:
	s_mov_b32 s9, 0
.LBB9_846:
	s_and_b32 vcc_lo, exec_lo, s9
	s_cbranch_vccz .LBB9_861
; %bb.847:
	s_cmp_lt_i32 s7, 27
	s_mov_b32 s9, -1
	s_cbranch_scc1 .LBB9_853
; %bb.848:
	v_cvt_u32_f64_e32 v2, v[0:1]
	s_cmp_gt_i32 s7, 27
	s_cbranch_scc0 .LBB9_850
; %bb.849:
	s_mov_b32 s9, 0
	global_store_dword v[4:5], v2, off
.LBB9_850:
	s_andn2_b32 vcc_lo, exec_lo, s9
	s_cbranch_vccnz .LBB9_852
; %bb.851:
	global_store_short v[4:5], v2, off
.LBB9_852:
	s_mov_b32 s9, 0
.LBB9_853:
	s_andn2_b32 vcc_lo, exec_lo, s9
	s_cbranch_vccnz .LBB9_861
; %bb.854:
	v_cvt_f32_f64_e32 v2, v[0:1]
	v_mov_b32_e32 v6, 0x80
	s_mov_b32 s9, exec_lo
	v_and_b32_e32 v3, 0x7fffffff, v2
	v_cmpx_gt_u32_e32 0x43800000, v3
	s_cbranch_execz .LBB9_860
; %bb.855:
	v_cmp_lt_u32_e32 vcc_lo, 0x3bffffff, v3
	s_mov_b32 s10, 0
                                        ; implicit-def: $vgpr3
	s_and_saveexec_b32 s11, vcc_lo
	s_xor_b32 s11, exec_lo, s11
	s_cbranch_execz .LBB9_1004
; %bb.856:
	v_bfe_u32 v3, v2, 20, 1
	s_mov_b32 s10, exec_lo
	v_add3_u32 v3, v2, v3, 0x487ffff
	v_lshrrev_b32_e32 v3, 20, v3
	s_andn2_saveexec_b32 s11, s11
	s_cbranch_execnz .LBB9_1005
.LBB9_857:
	s_or_b32 exec_lo, exec_lo, s11
	v_mov_b32_e32 v6, 0
	s_and_saveexec_b32 s11, s10
.LBB9_858:
	v_lshrrev_b32_e32 v2, 24, v2
	v_and_or_b32 v6, 0x80, v2, v3
.LBB9_859:
	s_or_b32 exec_lo, exec_lo, s11
.LBB9_860:
	s_or_b32 exec_lo, exec_lo, s9
	global_store_byte v[4:5], v6, off
.LBB9_861:
	s_mov_b32 s9, 0
.LBB9_862:
	s_and_b32 vcc_lo, exec_lo, s9
	s_cbranch_vccz .LBB9_902
; %bb.863:
	s_cmp_gt_i32 s7, 22
	s_mov_b32 s8, -1
	s_cbranch_scc0 .LBB9_895
; %bb.864:
	s_cmp_lt_i32 s7, 24
	s_cbranch_scc1 .LBB9_884
; %bb.865:
	s_cmp_gt_i32 s7, 24
	s_cbranch_scc0 .LBB9_873
; %bb.866:
	v_cvt_f32_f64_e32 v2, v[0:1]
	v_mov_b32_e32 v6, 0x80
	s_mov_b32 s8, exec_lo
	v_and_b32_e32 v3, 0x7fffffff, v2
	v_cmpx_gt_u32_e32 0x47800000, v3
	s_cbranch_execz .LBB9_872
; %bb.867:
	v_cmp_lt_u32_e32 vcc_lo, 0x37ffffff, v3
	s_mov_b32 s9, 0
                                        ; implicit-def: $vgpr3
	s_and_saveexec_b32 s10, vcc_lo
	s_xor_b32 s10, exec_lo, s10
	s_cbranch_execz .LBB9_1009
; %bb.868:
	v_bfe_u32 v3, v2, 21, 1
	s_mov_b32 s9, exec_lo
	v_add3_u32 v3, v2, v3, 0x88fffff
	v_lshrrev_b32_e32 v3, 21, v3
	s_andn2_saveexec_b32 s10, s10
	s_cbranch_execnz .LBB9_1010
.LBB9_869:
	s_or_b32 exec_lo, exec_lo, s10
	v_mov_b32_e32 v6, 0
	s_and_saveexec_b32 s10, s9
.LBB9_870:
	v_lshrrev_b32_e32 v2, 24, v2
	v_and_or_b32 v6, 0x80, v2, v3
.LBB9_871:
	s_or_b32 exec_lo, exec_lo, s10
.LBB9_872:
	s_or_b32 exec_lo, exec_lo, s8
	s_mov_b32 s8, 0
	global_store_byte v[4:5], v6, off
.LBB9_873:
	s_and_b32 vcc_lo, exec_lo, s8
	s_cbranch_vccz .LBB9_883
; %bb.874:
	v_cvt_f32_f64_e32 v2, v[0:1]
	s_mov_b32 s8, exec_lo
                                        ; implicit-def: $vgpr3
	v_and_b32_e32 v6, 0x7fffffff, v2
	v_cmpx_gt_u32_e32 0x43f00000, v6
	s_xor_b32 s8, exec_lo, s8
	s_cbranch_execz .LBB9_880
; %bb.875:
	s_mov_b32 s9, exec_lo
                                        ; implicit-def: $vgpr3
	v_cmpx_lt_u32_e32 0x3c7fffff, v6
	s_xor_b32 s9, exec_lo, s9
; %bb.876:
	v_bfe_u32 v3, v2, 20, 1
	v_add3_u32 v3, v2, v3, 0x407ffff
	v_and_b32_e32 v6, 0xff00000, v3
	v_lshrrev_b32_e32 v3, 20, v3
	v_cmp_ne_u32_e32 vcc_lo, 0x7f00000, v6
	v_cndmask_b32_e32 v3, 0x7e, v3, vcc_lo
; %bb.877:
	s_andn2_saveexec_b32 s9, s9
; %bb.878:
	v_add_f32_e64 v3, 0x46800000, |v2|
; %bb.879:
	s_or_b32 exec_lo, exec_lo, s9
                                        ; implicit-def: $vgpr6
.LBB9_880:
	s_andn2_saveexec_b32 s8, s8
; %bb.881:
	v_mov_b32_e32 v3, 0x7f
	v_cmp_lt_u32_e32 vcc_lo, 0x7f800000, v6
	v_cndmask_b32_e32 v3, 0x7e, v3, vcc_lo
; %bb.882:
	s_or_b32 exec_lo, exec_lo, s8
	v_lshrrev_b32_e32 v2, 24, v2
	v_and_or_b32 v2, 0x80, v2, v3
	global_store_byte v[4:5], v2, off
.LBB9_883:
	s_mov_b32 s8, 0
.LBB9_884:
	s_andn2_b32 vcc_lo, exec_lo, s8
	s_cbranch_vccnz .LBB9_894
; %bb.885:
	v_cvt_f32_f64_e32 v2, v[0:1]
	s_mov_b32 s8, exec_lo
                                        ; implicit-def: $vgpr3
	v_and_b32_e32 v6, 0x7fffffff, v2
	v_cmpx_gt_u32_e32 0x47800000, v6
	s_xor_b32 s8, exec_lo, s8
	s_cbranch_execz .LBB9_891
; %bb.886:
	s_mov_b32 s9, exec_lo
                                        ; implicit-def: $vgpr3
	v_cmpx_lt_u32_e32 0x387fffff, v6
	s_xor_b32 s9, exec_lo, s9
; %bb.887:
	v_bfe_u32 v3, v2, 21, 1
	v_add3_u32 v3, v2, v3, 0x80fffff
	v_lshrrev_b32_e32 v3, 21, v3
; %bb.888:
	s_andn2_saveexec_b32 s9, s9
; %bb.889:
	v_add_f32_e64 v3, 0x43000000, |v2|
; %bb.890:
	s_or_b32 exec_lo, exec_lo, s9
                                        ; implicit-def: $vgpr6
.LBB9_891:
	s_andn2_saveexec_b32 s8, s8
; %bb.892:
	v_mov_b32_e32 v3, 0x7f
	v_cmp_lt_u32_e32 vcc_lo, 0x7f800000, v6
	v_cndmask_b32_e32 v3, 0x7c, v3, vcc_lo
; %bb.893:
	s_or_b32 exec_lo, exec_lo, s8
	v_lshrrev_b32_e32 v2, 24, v2
	v_and_or_b32 v2, 0x80, v2, v3
	global_store_byte v[4:5], v2, off
.LBB9_894:
	s_mov_b32 s8, 0
.LBB9_895:
	s_andn2_b32 vcc_lo, exec_lo, s8
	s_mov_b32 s8, 0
	s_cbranch_vccnz .LBB9_902
; %bb.896:
	s_cmp_gt_i32 s7, 14
	s_mov_b32 s8, -1
	s_cbranch_scc0 .LBB9_900
; %bb.897:
	s_cmp_eq_u32 s7, 15
	s_mov_b32 s4, -1
	s_cbranch_scc0 .LBB9_899
; %bb.898:
	v_cvt_f32_f64_e32 v2, v[0:1]
	s_mov_b32 s4, 0
	v_bfe_u32 v3, v2, 16, 1
	v_cmp_o_f32_e32 vcc_lo, v2, v2
	v_add3_u32 v2, v2, v3, 0x7fff
	v_mov_b32_e32 v3, 0x7fc0
	v_cndmask_b32_sdwa v2, v3, v2, vcc_lo dst_sel:DWORD dst_unused:UNUSED_PAD src0_sel:DWORD src1_sel:WORD_1
	global_store_short v[4:5], v2, off
.LBB9_899:
	s_mov_b32 s8, 0
.LBB9_900:
	s_and_b32 vcc_lo, exec_lo, s8
	s_mov_b32 s8, 0
	s_cbranch_vccz .LBB9_902
; %bb.901:
	s_cmp_lg_u32 s7, 11
	s_mov_b32 s8, -1
	s_cselect_b32 s4, -1, 0
.LBB9_902:
	s_and_b32 vcc_lo, exec_lo, s4
	s_cbranch_vccnz .LBB9_1006
.LBB9_903:
	s_mov_b32 s4, 0
	s_branch .LBB9_944
.LBB9_904:
	s_mov_b32 s10, 0
	s_cbranch_execz .LBB9_827
; %bb.905:
	s_and_b32 s4, 0xffff, s5
	s_mov_b32 s8, -1
	s_cmp_lt_i32 s4, 5
	s_cbranch_scc1 .LBB9_926
; %bb.906:
	s_cmp_lt_i32 s4, 8
	s_cbranch_scc1 .LBB9_916
; %bb.907:
	;; [unrolled: 3-line block ×3, first 2 shown]
	s_cmp_gt_i32 s4, 9
	s_cbranch_scc0 .LBB9_910
; %bb.909:
	v_mov_b32_e32 v42, 0
	s_mov_b32 s8, 0
	v_mov_b32_e32 v43, v42
	global_store_dwordx4 v[2:3], v[40:43], off
.LBB9_910:
	s_andn2_b32 vcc_lo, exec_lo, s8
	s_cbranch_vccnz .LBB9_912
; %bb.911:
	v_cvt_f32_f64_e32 v5, v[40:41]
	v_mov_b32_e32 v6, 0
	global_store_dwordx2 v[2:3], v[5:6], off
.LBB9_912:
	s_mov_b32 s8, 0
.LBB9_913:
	s_andn2_b32 vcc_lo, exec_lo, s8
	s_cbranch_vccnz .LBB9_915
; %bb.914:
	v_and_or_b32 v5, 0x1ff, v41, v40
	v_lshrrev_b32_e32 v6, 8, v41
	v_bfe_u32 v7, v41, 20, 11
	v_cmp_ne_u32_e32 vcc_lo, 0, v5
	v_sub_nc_u32_e32 v8, 0x3f1, v7
	v_add_nc_u32_e32 v7, 0xfffffc10, v7
	v_cndmask_b32_e64 v5, 0, 1, vcc_lo
	v_and_or_b32 v5, 0xffe, v6, v5
	v_med3_i32 v6, v8, 0, 13
	v_or_b32_e32 v8, 0x1000, v5
	v_lshrrev_b32_e32 v9, v6, v8
	v_lshlrev_b32_e32 v6, v6, v9
	v_cmp_ne_u32_e32 vcc_lo, v6, v8
	v_lshl_or_b32 v8, v7, 12, v5
	v_cndmask_b32_e64 v6, 0, 1, vcc_lo
	v_cmp_gt_i32_e32 vcc_lo, 1, v7
	v_or_b32_e32 v6, v9, v6
	v_cndmask_b32_e32 v6, v8, v6, vcc_lo
	v_and_b32_e32 v8, 7, v6
	v_lshrrev_b32_e32 v6, 2, v6
	v_cmp_lt_i32_e32 vcc_lo, 5, v8
	v_cndmask_b32_e64 v9, 0, 1, vcc_lo
	v_cmp_eq_u32_e32 vcc_lo, 3, v8
	v_cndmask_b32_e64 v8, 0, 1, vcc_lo
	v_cmp_ne_u32_e32 vcc_lo, 0, v5
	v_or_b32_e32 v8, v8, v9
	v_mov_b32_e32 v9, 0x7e00
	v_add_nc_u32_e32 v6, v6, v8
	v_cndmask_b32_e32 v5, 0x7c00, v9, vcc_lo
	v_cmp_gt_i32_e32 vcc_lo, 31, v7
	v_cndmask_b32_e32 v6, 0x7c00, v6, vcc_lo
	v_cmp_eq_u32_e32 vcc_lo, 0x40f, v7
	v_cndmask_b32_e32 v5, v6, v5, vcc_lo
	v_lshrrev_b32_e32 v6, 16, v41
	v_and_or_b32 v5, 0x8000, v6, v5
	v_and_b32_e32 v5, 0xffff, v5
	global_store_dword v[2:3], v5, off
.LBB9_915:
	s_mov_b32 s8, 0
.LBB9_916:
	s_andn2_b32 vcc_lo, exec_lo, s8
	s_cbranch_vccnz .LBB9_925
; %bb.917:
	s_cmp_lt_i32 s4, 6
	s_mov_b32 s8, -1
	s_cbranch_scc1 .LBB9_923
; %bb.918:
	s_cmp_gt_i32 s4, 6
	s_cbranch_scc0 .LBB9_920
; %bb.919:
	s_mov_b32 s8, 0
	global_store_dwordx2 v[2:3], v[40:41], off
.LBB9_920:
	s_andn2_b32 vcc_lo, exec_lo, s8
	s_cbranch_vccnz .LBB9_922
; %bb.921:
	v_cvt_f32_f64_e32 v5, v[40:41]
	global_store_dword v[2:3], v5, off
.LBB9_922:
	s_mov_b32 s8, 0
.LBB9_923:
	s_andn2_b32 vcc_lo, exec_lo, s8
	s_cbranch_vccnz .LBB9_925
; %bb.924:
	v_and_or_b32 v5, 0x1ff, v41, v40
	v_lshrrev_b32_e32 v6, 8, v41
	v_bfe_u32 v7, v41, 20, 11
	v_cmp_ne_u32_e32 vcc_lo, 0, v5
	v_sub_nc_u32_e32 v8, 0x3f1, v7
	v_add_nc_u32_e32 v7, 0xfffffc10, v7
	v_cndmask_b32_e64 v5, 0, 1, vcc_lo
	v_and_or_b32 v5, 0xffe, v6, v5
	v_med3_i32 v6, v8, 0, 13
	v_or_b32_e32 v8, 0x1000, v5
	v_lshrrev_b32_e32 v9, v6, v8
	v_lshlrev_b32_e32 v6, v6, v9
	v_cmp_ne_u32_e32 vcc_lo, v6, v8
	v_lshl_or_b32 v8, v7, 12, v5
	v_cndmask_b32_e64 v6, 0, 1, vcc_lo
	v_cmp_gt_i32_e32 vcc_lo, 1, v7
	v_or_b32_e32 v6, v9, v6
	v_cndmask_b32_e32 v6, v8, v6, vcc_lo
	v_and_b32_e32 v8, 7, v6
	v_lshrrev_b32_e32 v6, 2, v6
	v_cmp_lt_i32_e32 vcc_lo, 5, v8
	v_cndmask_b32_e64 v9, 0, 1, vcc_lo
	v_cmp_eq_u32_e32 vcc_lo, 3, v8
	v_cndmask_b32_e64 v8, 0, 1, vcc_lo
	v_cmp_ne_u32_e32 vcc_lo, 0, v5
	v_or_b32_e32 v8, v8, v9
	v_mov_b32_e32 v9, 0x7e00
	v_add_nc_u32_e32 v6, v6, v8
	v_cndmask_b32_e32 v5, 0x7c00, v9, vcc_lo
	v_cmp_gt_i32_e32 vcc_lo, 31, v7
	v_cndmask_b32_e32 v6, 0x7c00, v6, vcc_lo
	v_cmp_eq_u32_e32 vcc_lo, 0x40f, v7
	v_cndmask_b32_e32 v5, v6, v5, vcc_lo
	v_lshrrev_b32_e32 v6, 16, v41
	v_and_or_b32 v5, 0x8000, v6, v5
	global_store_short v[2:3], v5, off
.LBB9_925:
	s_mov_b32 s8, 0
.LBB9_926:
	s_andn2_b32 vcc_lo, exec_lo, s8
	s_cbranch_vccnz .LBB9_942
; %bb.927:
	s_cmp_lt_i32 s4, 2
	s_mov_b32 s8, -1
	s_cbranch_scc1 .LBB9_937
; %bb.928:
	s_cmp_lt_i32 s4, 3
	s_cbranch_scc1 .LBB9_934
; %bb.929:
	s_cmp_gt_i32 s4, 3
	s_cbranch_scc0 .LBB9_931
; %bb.930:
	v_trunc_f64_e32 v[5:6], v[40:41]
	s_mov_b32 s8, 0
	v_ldexp_f64 v[7:8], v[5:6], 0xffffffe0
	v_floor_f64_e32 v[7:8], v[7:8]
	v_fma_f64 v[5:6], 0xc1f00000, v[7:8], v[5:6]
	v_cvt_i32_f64_e32 v7, v[7:8]
	v_cvt_u32_f64_e32 v6, v[5:6]
	global_store_dwordx2 v[2:3], v[6:7], off
.LBB9_931:
	s_andn2_b32 vcc_lo, exec_lo, s8
	s_cbranch_vccnz .LBB9_933
; %bb.932:
	v_cvt_i32_f64_e32 v5, v[40:41]
	global_store_dword v[2:3], v5, off
.LBB9_933:
	s_mov_b32 s8, 0
.LBB9_934:
	s_andn2_b32 vcc_lo, exec_lo, s8
	s_cbranch_vccnz .LBB9_936
; %bb.935:
	v_cvt_i32_f64_e32 v5, v[40:41]
	global_store_short v[2:3], v5, off
.LBB9_936:
	s_mov_b32 s8, 0
.LBB9_937:
	s_andn2_b32 vcc_lo, exec_lo, s8
	s_cbranch_vccnz .LBB9_942
; %bb.938:
	s_cmp_gt_i32 s4, 0
	s_mov_b32 s4, -1
	s_cbranch_scc0 .LBB9_940
; %bb.939:
	v_cvt_i32_f64_e32 v5, v[40:41]
	s_mov_b32 s4, 0
	global_store_byte v[2:3], v5, off
.LBB9_940:
	s_andn2_b32 vcc_lo, exec_lo, s4
	s_cbranch_vccnz .LBB9_942
; %bb.941:
	v_trunc_f64_e32 v[5:6], v[40:41]
	v_ldexp_f64 v[7:8], v[5:6], 0xffffffe0
	v_floor_f64_e32 v[7:8], v[7:8]
	v_fma_f64 v[5:6], 0xc1f00000, v[7:8], v[5:6]
	v_cvt_u32_f64_e32 v5, v[5:6]
	global_store_byte v[2:3], v5, off
.LBB9_942:
	s_branch .LBB9_828
.LBB9_943:
	s_mov_b32 s4, 0
	s_mov_b32 s8, 0
                                        ; implicit-def: $sgpr5
                                        ; implicit-def: $vgpr4_vgpr5
.LBB9_944:
	s_andn2_b32 s7, s34, exec_lo
	s_and_b32 s6, s6, exec_lo
	s_and_b32 s4, s4, exec_lo
	;; [unrolled: 1-line block ×3, first 2 shown]
	s_or_b32 s34, s7, s6
.LBB9_945:
	s_or_b32 exec_lo, exec_lo, s33
	s_and_saveexec_b32 s6, s34
	s_cbranch_execz .LBB9_948
; %bb.946:
	; divergent unreachable
	s_or_b32 exec_lo, exec_lo, s6
	s_and_saveexec_b32 s6, s29
	s_xor_b32 s6, exec_lo, s6
	s_cbranch_execnz .LBB9_949
.LBB9_947:
	s_or_b32 exec_lo, exec_lo, s6
	s_and_saveexec_b32 s6, s4
	s_cbranch_execnz .LBB9_950
	s_branch .LBB9_987
.LBB9_948:
	s_or_b32 exec_lo, exec_lo, s6
	s_and_saveexec_b32 s6, s29
	s_xor_b32 s6, exec_lo, s6
	s_cbranch_execz .LBB9_947
.LBB9_949:
	v_cmp_neq_f64_e32 vcc_lo, 0, v[0:1]
	v_cndmask_b32_e64 v2, 0, 1, vcc_lo
	global_store_byte v[4:5], v2, off
	s_or_b32 exec_lo, exec_lo, s6
	s_and_saveexec_b32 s6, s4
	s_cbranch_execz .LBB9_987
.LBB9_950:
	s_sext_i32_i16 s6, s5
	s_mov_b32 s4, -1
	s_cmp_lt_i32 s6, 5
	s_cbranch_scc1 .LBB9_971
; %bb.951:
	s_cmp_lt_i32 s6, 8
	s_cbranch_scc1 .LBB9_961
; %bb.952:
	;; [unrolled: 3-line block ×3, first 2 shown]
	s_cmp_gt_i32 s6, 9
	s_cbranch_scc0 .LBB9_955
; %bb.954:
	v_mov_b32_e32 v2, 0
	s_mov_b32 s4, 0
	v_mov_b32_e32 v3, v2
	global_store_dwordx4 v[4:5], v[0:3], off
.LBB9_955:
	s_andn2_b32 vcc_lo, exec_lo, s4
	s_cbranch_vccnz .LBB9_957
; %bb.956:
	v_cvt_f32_f64_e32 v2, v[0:1]
	v_mov_b32_e32 v3, 0
	global_store_dwordx2 v[4:5], v[2:3], off
.LBB9_957:
	s_mov_b32 s4, 0
.LBB9_958:
	s_andn2_b32 vcc_lo, exec_lo, s4
	s_cbranch_vccnz .LBB9_960
; %bb.959:
	v_and_or_b32 v2, 0x1ff, v1, v0
	v_lshrrev_b32_e32 v3, 8, v1
	v_bfe_u32 v6, v1, 20, 11
	v_cmp_ne_u32_e32 vcc_lo, 0, v2
	v_sub_nc_u32_e32 v7, 0x3f1, v6
	v_add_nc_u32_e32 v6, 0xfffffc10, v6
	v_cndmask_b32_e64 v2, 0, 1, vcc_lo
	v_and_or_b32 v2, 0xffe, v3, v2
	v_med3_i32 v3, v7, 0, 13
	v_or_b32_e32 v7, 0x1000, v2
	v_lshrrev_b32_e32 v8, v3, v7
	v_lshlrev_b32_e32 v3, v3, v8
	v_cmp_ne_u32_e32 vcc_lo, v3, v7
	v_lshl_or_b32 v7, v6, 12, v2
	v_cndmask_b32_e64 v3, 0, 1, vcc_lo
	v_cmp_gt_i32_e32 vcc_lo, 1, v6
	v_or_b32_e32 v3, v8, v3
	v_cndmask_b32_e32 v3, v7, v3, vcc_lo
	v_and_b32_e32 v7, 7, v3
	v_lshrrev_b32_e32 v3, 2, v3
	v_cmp_lt_i32_e32 vcc_lo, 5, v7
	v_cndmask_b32_e64 v8, 0, 1, vcc_lo
	v_cmp_eq_u32_e32 vcc_lo, 3, v7
	v_cndmask_b32_e64 v7, 0, 1, vcc_lo
	v_cmp_ne_u32_e32 vcc_lo, 0, v2
	v_or_b32_e32 v7, v7, v8
	v_mov_b32_e32 v8, 0x7e00
	v_add_nc_u32_e32 v3, v3, v7
	v_cndmask_b32_e32 v2, 0x7c00, v8, vcc_lo
	v_cmp_gt_i32_e32 vcc_lo, 31, v6
	v_cndmask_b32_e32 v3, 0x7c00, v3, vcc_lo
	v_cmp_eq_u32_e32 vcc_lo, 0x40f, v6
	v_cndmask_b32_e32 v2, v3, v2, vcc_lo
	v_lshrrev_b32_e32 v3, 16, v1
	v_and_or_b32 v2, 0x8000, v3, v2
	v_and_b32_e32 v2, 0xffff, v2
	global_store_dword v[4:5], v2, off
.LBB9_960:
	s_mov_b32 s4, 0
.LBB9_961:
	s_andn2_b32 vcc_lo, exec_lo, s4
	s_cbranch_vccnz .LBB9_970
; %bb.962:
	s_sext_i32_i16 s6, s5
	s_mov_b32 s4, -1
	s_cmp_lt_i32 s6, 6
	s_cbranch_scc1 .LBB9_968
; %bb.963:
	s_cmp_gt_i32 s6, 6
	s_cbranch_scc0 .LBB9_965
; %bb.964:
	s_mov_b32 s4, 0
	global_store_dwordx2 v[4:5], v[0:1], off
.LBB9_965:
	s_andn2_b32 vcc_lo, exec_lo, s4
	s_cbranch_vccnz .LBB9_967
; %bb.966:
	v_cvt_f32_f64_e32 v2, v[0:1]
	global_store_dword v[4:5], v2, off
.LBB9_967:
	s_mov_b32 s4, 0
.LBB9_968:
	s_andn2_b32 vcc_lo, exec_lo, s4
	s_cbranch_vccnz .LBB9_970
; %bb.969:
	v_and_or_b32 v2, 0x1ff, v1, v0
	v_lshrrev_b32_e32 v3, 8, v1
	v_bfe_u32 v6, v1, 20, 11
	v_cmp_ne_u32_e32 vcc_lo, 0, v2
	v_sub_nc_u32_e32 v7, 0x3f1, v6
	v_add_nc_u32_e32 v6, 0xfffffc10, v6
	v_cndmask_b32_e64 v2, 0, 1, vcc_lo
	v_and_or_b32 v2, 0xffe, v3, v2
	v_med3_i32 v3, v7, 0, 13
	v_or_b32_e32 v7, 0x1000, v2
	v_lshrrev_b32_e32 v8, v3, v7
	v_lshlrev_b32_e32 v3, v3, v8
	v_cmp_ne_u32_e32 vcc_lo, v3, v7
	v_lshl_or_b32 v7, v6, 12, v2
	v_cndmask_b32_e64 v3, 0, 1, vcc_lo
	v_cmp_gt_i32_e32 vcc_lo, 1, v6
	v_or_b32_e32 v3, v8, v3
	v_cndmask_b32_e32 v3, v7, v3, vcc_lo
	v_and_b32_e32 v7, 7, v3
	v_lshrrev_b32_e32 v3, 2, v3
	v_cmp_lt_i32_e32 vcc_lo, 5, v7
	v_cndmask_b32_e64 v8, 0, 1, vcc_lo
	v_cmp_eq_u32_e32 vcc_lo, 3, v7
	v_cndmask_b32_e64 v7, 0, 1, vcc_lo
	v_cmp_ne_u32_e32 vcc_lo, 0, v2
	v_or_b32_e32 v7, v7, v8
	v_mov_b32_e32 v8, 0x7e00
	v_add_nc_u32_e32 v3, v3, v7
	v_cndmask_b32_e32 v2, 0x7c00, v8, vcc_lo
	v_cmp_gt_i32_e32 vcc_lo, 31, v6
	v_cndmask_b32_e32 v3, 0x7c00, v3, vcc_lo
	v_cmp_eq_u32_e32 vcc_lo, 0x40f, v6
	v_cndmask_b32_e32 v2, v3, v2, vcc_lo
	v_lshrrev_b32_e32 v3, 16, v1
	v_and_or_b32 v2, 0x8000, v3, v2
	global_store_short v[4:5], v2, off
.LBB9_970:
	s_mov_b32 s4, 0
.LBB9_971:
	s_andn2_b32 vcc_lo, exec_lo, s4
	s_cbranch_vccnz .LBB9_987
; %bb.972:
	s_sext_i32_i16 s6, s5
	s_mov_b32 s4, -1
	s_cmp_lt_i32 s6, 2
	s_cbranch_scc1 .LBB9_982
; %bb.973:
	s_cmp_lt_i32 s6, 3
	s_cbranch_scc1 .LBB9_979
; %bb.974:
	s_cmp_gt_i32 s6, 3
	s_cbranch_scc0 .LBB9_976
; %bb.975:
	v_trunc_f64_e32 v[2:3], v[0:1]
	s_mov_b32 s4, 0
	v_ldexp_f64 v[6:7], v[2:3], 0xffffffe0
	v_floor_f64_e32 v[6:7], v[6:7]
	v_fma_f64 v[2:3], 0xc1f00000, v[6:7], v[2:3]
	v_cvt_i32_f64_e32 v7, v[6:7]
	v_cvt_u32_f64_e32 v6, v[2:3]
	global_store_dwordx2 v[4:5], v[6:7], off
.LBB9_976:
	s_andn2_b32 vcc_lo, exec_lo, s4
	s_cbranch_vccnz .LBB9_978
; %bb.977:
	v_cvt_i32_f64_e32 v2, v[0:1]
	global_store_dword v[4:5], v2, off
.LBB9_978:
	s_mov_b32 s4, 0
.LBB9_979:
	s_andn2_b32 vcc_lo, exec_lo, s4
	s_cbranch_vccnz .LBB9_981
; %bb.980:
	v_cvt_i32_f64_e32 v2, v[0:1]
	global_store_short v[4:5], v2, off
.LBB9_981:
	s_mov_b32 s4, 0
.LBB9_982:
	s_andn2_b32 vcc_lo, exec_lo, s4
	s_cbranch_vccnz .LBB9_987
; %bb.983:
	s_sext_i32_i16 s4, s5
	s_cmp_gt_i32 s4, 0
	s_mov_b32 s4, -1
	s_cbranch_scc0 .LBB9_985
; %bb.984:
	v_cvt_i32_f64_e32 v2, v[0:1]
	s_mov_b32 s4, 0
	global_store_byte v[4:5], v2, off
.LBB9_985:
	s_andn2_b32 vcc_lo, exec_lo, s4
	s_cbranch_vccnz .LBB9_987
; %bb.986:
	v_trunc_f64_e32 v[0:1], v[0:1]
	v_ldexp_f64 v[2:3], v[0:1], 0xffffffe0
	v_floor_f64_e32 v[2:3], v[2:3]
	v_fma_f64 v[0:1], 0xc1f00000, v[2:3], v[0:1]
	v_cvt_u32_f64_e32 v0, v[0:1]
	global_store_byte v[4:5], v0, off
	s_endpgm
.LBB9_987:
	s_endpgm
.LBB9_988:
	s_mov_b32 s8, 0
	s_mov_b32 s4, -1
	s_branch .LBB9_944
.LBB9_989:
	s_andn2_saveexec_b32 s10, s10
	s_cbranch_execz .LBB9_541
.LBB9_990:
	v_add_f32_e64 v6, 0x46000000, |v5|
	s_andn2_b32 s9, s9, exec_lo
	v_and_b32_e32 v6, 0xff, v6
	v_cmp_ne_u32_e32 vcc_lo, 0, v6
	s_and_b32 s11, vcc_lo, exec_lo
	s_or_b32 s9, s9, s11
	s_or_b32 exec_lo, exec_lo, s10
	v_mov_b32_e32 v7, 0
	s_and_saveexec_b32 s10, s9
	s_cbranch_execnz .LBB9_542
	s_branch .LBB9_543
.LBB9_991:
	s_or_b32 s6, s34, exec_lo
	s_trap 2
	s_cbranch_execz .LBB9_589
	s_branch .LBB9_590
.LBB9_992:
	s_andn2_saveexec_b32 s9, s9
	s_cbranch_execz .LBB9_554
.LBB9_993:
	v_add_f32_e64 v6, 0x42800000, |v5|
	s_andn2_b32 s8, s8, exec_lo
	v_and_b32_e32 v6, 0xff, v6
	v_cmp_ne_u32_e32 vcc_lo, 0, v6
	s_and_b32 s10, vcc_lo, exec_lo
	s_or_b32 s8, s8, s10
	s_or_b32 exec_lo, exec_lo, s9
	v_mov_b32_e32 v7, 0
	s_and_saveexec_b32 s9, s8
	s_cbranch_execnz .LBB9_555
	s_branch .LBB9_556
.LBB9_994:
	s_andn2_saveexec_b32 s12, s12
	s_cbranch_execz .LBB9_659
.LBB9_995:
	v_add_f32_e64 v6, 0x46000000, |v5|
	s_andn2_b32 s11, s11, exec_lo
	v_and_b32_e32 v6, 0xff, v6
	v_cmp_ne_u32_e32 vcc_lo, 0, v6
	s_and_b32 s13, vcc_lo, exec_lo
	s_or_b32 s11, s11, s13
	s_or_b32 exec_lo, exec_lo, s12
	v_mov_b32_e32 v7, 0
	s_and_saveexec_b32 s12, s11
	s_cbranch_execnz .LBB9_660
	s_branch .LBB9_661
.LBB9_996:
	s_or_b32 s6, s6, exec_lo
	s_trap 2
	s_cbranch_execz .LBB9_707
	s_branch .LBB9_708
.LBB9_997:
	s_andn2_saveexec_b32 s11, s11
	s_cbranch_execz .LBB9_672
.LBB9_998:
	v_add_f32_e64 v6, 0x42800000, |v5|
	s_andn2_b32 s10, s10, exec_lo
	v_and_b32_e32 v6, 0xff, v6
	v_cmp_ne_u32_e32 vcc_lo, 0, v6
	s_and_b32 s12, vcc_lo, exec_lo
	s_or_b32 s10, s10, s12
	s_or_b32 exec_lo, exec_lo, s11
	v_mov_b32_e32 v7, 0
	s_and_saveexec_b32 s11, s10
	s_cbranch_execnz .LBB9_673
	s_branch .LBB9_674
.LBB9_999:
	s_andn2_saveexec_b32 s12, s12
	s_cbranch_execz .LBB9_777
.LBB9_1000:
	v_add_f32_e64 v6, 0x46000000, |v5|
	s_andn2_b32 s11, s11, exec_lo
	v_and_b32_e32 v6, 0xff, v6
	v_cmp_ne_u32_e32 vcc_lo, 0, v6
	s_and_b32 s13, vcc_lo, exec_lo
	s_or_b32 s11, s11, s13
	s_or_b32 exec_lo, exec_lo, s12
	v_mov_b32_e32 v7, 0
	s_and_saveexec_b32 s12, s11
	s_cbranch_execnz .LBB9_778
	s_branch .LBB9_779
.LBB9_1001:
	s_or_b32 s6, s6, exec_lo
	s_trap 2
	s_cbranch_execz .LBB9_825
	s_branch .LBB9_826
.LBB9_1002:
	s_andn2_saveexec_b32 s11, s11
	s_cbranch_execz .LBB9_790
.LBB9_1003:
	v_add_f32_e64 v6, 0x42800000, |v5|
	s_andn2_b32 s10, s10, exec_lo
	v_and_b32_e32 v6, 0xff, v6
	v_cmp_ne_u32_e32 vcc_lo, 0, v6
	s_and_b32 s12, vcc_lo, exec_lo
	s_or_b32 s10, s10, s12
	s_or_b32 exec_lo, exec_lo, s11
	v_mov_b32_e32 v7, 0
	s_and_saveexec_b32 s11, s10
	s_cbranch_execnz .LBB9_791
	s_branch .LBB9_792
.LBB9_1004:
	s_andn2_saveexec_b32 s11, s11
	s_cbranch_execz .LBB9_857
.LBB9_1005:
	v_add_f32_e64 v3, 0x46000000, |v2|
	s_andn2_b32 s10, s10, exec_lo
	v_and_b32_e32 v3, 0xff, v3
	v_cmp_ne_u32_e32 vcc_lo, 0, v3
	s_and_b32 s12, vcc_lo, exec_lo
	s_or_b32 s10, s10, s12
	s_or_b32 exec_lo, exec_lo, s11
	v_mov_b32_e32 v6, 0
	s_and_saveexec_b32 s11, s10
	s_cbranch_execnz .LBB9_858
	s_branch .LBB9_859
.LBB9_1006:
	s_mov_b32 s8, 0
	s_or_b32 s6, s6, exec_lo
	s_trap 2
	s_branch .LBB9_903
.LBB9_1007:
	s_andn2_saveexec_b32 s9, s9
	s_cbranch_execz .LBB9_422
.LBB9_1008:
	v_add_f32_e64 v3, 0x46000000, |v2|
	s_andn2_b32 s8, s8, exec_lo
	v_and_b32_e32 v3, 0xff, v3
	v_cmp_ne_u32_e32 vcc_lo, 0, v3
	s_and_b32 s10, vcc_lo, exec_lo
	s_or_b32 s8, s8, s10
	s_or_b32 exec_lo, exec_lo, s9
	v_mov_b32_e32 v6, 0
	s_and_saveexec_b32 s9, s8
	s_cbranch_execnz .LBB9_423
	s_branch .LBB9_424
.LBB9_1009:
	s_andn2_saveexec_b32 s10, s10
	s_cbranch_execz .LBB9_869
.LBB9_1010:
	v_add_f32_e64 v3, 0x42800000, |v2|
	s_andn2_b32 s9, s9, exec_lo
	v_and_b32_e32 v3, 0xff, v3
	v_cmp_ne_u32_e32 vcc_lo, 0, v3
	s_and_b32 s11, vcc_lo, exec_lo
	s_or_b32 s9, s9, s11
	s_or_b32 exec_lo, exec_lo, s10
	v_mov_b32_e32 v6, 0
	s_and_saveexec_b32 s10, s9
	s_cbranch_execnz .LBB9_870
	s_branch .LBB9_871
.LBB9_1011:
	s_andn2_saveexec_b32 s10, s10
	s_cbranch_execz .LBB9_434
.LBB9_1012:
	v_add_f32_e64 v3, 0x42800000, |v2|
	s_andn2_b32 s9, s9, exec_lo
	v_and_b32_e32 v3, 0xff, v3
	v_cmp_ne_u32_e32 vcc_lo, 0, v3
	s_and_b32 s11, vcc_lo, exec_lo
	s_or_b32 s9, s9, s11
	s_or_b32 exec_lo, exec_lo, s10
	v_mov_b32_e32 v6, 0
	s_and_saveexec_b32 s10, s9
	s_cbranch_execnz .LBB9_435
	s_branch .LBB9_436
	.section	.rodata,"a",@progbits
	.p2align	6, 0x0
	.amdhsa_kernel _ZN2at6native32elementwise_kernel_manual_unrollILi128ELi4EZNS0_15gpu_kernel_implIZZZNS0_12_GLOBAL__N_121bessel_y1_kernel_cudaERNS_18TensorIteratorBaseEENKUlvE_clEvENKUlvE_clEvEUldE_EEvS5_RKT_EUlibE_EEviT1_
		.amdhsa_group_segment_fixed_size 0
		.amdhsa_private_segment_fixed_size 0
		.amdhsa_kernarg_size 40
		.amdhsa_user_sgpr_count 6
		.amdhsa_user_sgpr_private_segment_buffer 1
		.amdhsa_user_sgpr_dispatch_ptr 0
		.amdhsa_user_sgpr_queue_ptr 0
		.amdhsa_user_sgpr_kernarg_segment_ptr 1
		.amdhsa_user_sgpr_dispatch_id 0
		.amdhsa_user_sgpr_flat_scratch_init 0
		.amdhsa_user_sgpr_private_segment_size 0
		.amdhsa_wavefront_size32 1
		.amdhsa_uses_dynamic_stack 0
		.amdhsa_system_sgpr_private_segment_wavefront_offset 0
		.amdhsa_system_sgpr_workgroup_id_x 1
		.amdhsa_system_sgpr_workgroup_id_y 0
		.amdhsa_system_sgpr_workgroup_id_z 0
		.amdhsa_system_sgpr_workgroup_info 0
		.amdhsa_system_vgpr_workitem_id 0
		.amdhsa_next_free_vgpr 84
		.amdhsa_next_free_sgpr 45
		.amdhsa_reserve_vcc 1
		.amdhsa_reserve_flat_scratch 0
		.amdhsa_float_round_mode_32 0
		.amdhsa_float_round_mode_16_64 0
		.amdhsa_float_denorm_mode_32 3
		.amdhsa_float_denorm_mode_16_64 3
		.amdhsa_dx10_clamp 1
		.amdhsa_ieee_mode 1
		.amdhsa_fp16_overflow 0
		.amdhsa_workgroup_processor_mode 1
		.amdhsa_memory_ordered 1
		.amdhsa_forward_progress 1
		.amdhsa_shared_vgpr_count 0
		.amdhsa_exception_fp_ieee_invalid_op 0
		.amdhsa_exception_fp_denorm_src 0
		.amdhsa_exception_fp_ieee_div_zero 0
		.amdhsa_exception_fp_ieee_overflow 0
		.amdhsa_exception_fp_ieee_underflow 0
		.amdhsa_exception_fp_ieee_inexact 0
		.amdhsa_exception_int_div_zero 0
	.end_amdhsa_kernel
	.section	.text._ZN2at6native32elementwise_kernel_manual_unrollILi128ELi4EZNS0_15gpu_kernel_implIZZZNS0_12_GLOBAL__N_121bessel_y1_kernel_cudaERNS_18TensorIteratorBaseEENKUlvE_clEvENKUlvE_clEvEUldE_EEvS5_RKT_EUlibE_EEviT1_,"axG",@progbits,_ZN2at6native32elementwise_kernel_manual_unrollILi128ELi4EZNS0_15gpu_kernel_implIZZZNS0_12_GLOBAL__N_121bessel_y1_kernel_cudaERNS_18TensorIteratorBaseEENKUlvE_clEvENKUlvE_clEvEUldE_EEvS5_RKT_EUlibE_EEviT1_,comdat
.Lfunc_end9:
	.size	_ZN2at6native32elementwise_kernel_manual_unrollILi128ELi4EZNS0_15gpu_kernel_implIZZZNS0_12_GLOBAL__N_121bessel_y1_kernel_cudaERNS_18TensorIteratorBaseEENKUlvE_clEvENKUlvE_clEvEUldE_EEvS5_RKT_EUlibE_EEviT1_, .Lfunc_end9-_ZN2at6native32elementwise_kernel_manual_unrollILi128ELi4EZNS0_15gpu_kernel_implIZZZNS0_12_GLOBAL__N_121bessel_y1_kernel_cudaERNS_18TensorIteratorBaseEENKUlvE_clEvENKUlvE_clEvEUldE_EEvS5_RKT_EUlibE_EEviT1_
                                        ; -- End function
	.set _ZN2at6native32elementwise_kernel_manual_unrollILi128ELi4EZNS0_15gpu_kernel_implIZZZNS0_12_GLOBAL__N_121bessel_y1_kernel_cudaERNS_18TensorIteratorBaseEENKUlvE_clEvENKUlvE_clEvEUldE_EEvS5_RKT_EUlibE_EEviT1_.num_vgpr, max(57, .L_ZN2at6native6invokeIZZZNS0_12_GLOBAL__N_121bessel_y1_kernel_cudaERNS_18TensorIteratorBaseEENKUlvE_clEvENKUlvE_clEvEUldE_i15function_traitsIS7_EEENT1_11result_typeERKT_PrKPcPKT0_PKN3c1010ScalarTypeEi.num_vgpr)
	.set _ZN2at6native32elementwise_kernel_manual_unrollILi128ELi4EZNS0_15gpu_kernel_implIZZZNS0_12_GLOBAL__N_121bessel_y1_kernel_cudaERNS_18TensorIteratorBaseEENKUlvE_clEvENKUlvE_clEvEUldE_EEvS5_RKT_EUlibE_EEviT1_.num_agpr, max(0, .L_ZN2at6native6invokeIZZZNS0_12_GLOBAL__N_121bessel_y1_kernel_cudaERNS_18TensorIteratorBaseEENKUlvE_clEvENKUlvE_clEvEUldE_i15function_traitsIS7_EEENT1_11result_typeERKT_PrKPcPKT0_PKN3c1010ScalarTypeEi.num_agpr)
	.set _ZN2at6native32elementwise_kernel_manual_unrollILi128ELi4EZNS0_15gpu_kernel_implIZZZNS0_12_GLOBAL__N_121bessel_y1_kernel_cudaERNS_18TensorIteratorBaseEENKUlvE_clEvENKUlvE_clEvEUldE_EEvS5_RKT_EUlibE_EEviT1_.numbered_sgpr, max(45, .L_ZN2at6native6invokeIZZZNS0_12_GLOBAL__N_121bessel_y1_kernel_cudaERNS_18TensorIteratorBaseEENKUlvE_clEvENKUlvE_clEvEUldE_i15function_traitsIS7_EEENT1_11result_typeERKT_PrKPcPKT0_PKN3c1010ScalarTypeEi.numbered_sgpr)
	.set _ZN2at6native32elementwise_kernel_manual_unrollILi128ELi4EZNS0_15gpu_kernel_implIZZZNS0_12_GLOBAL__N_121bessel_y1_kernel_cudaERNS_18TensorIteratorBaseEENKUlvE_clEvENKUlvE_clEvEUldE_EEvS5_RKT_EUlibE_EEviT1_.num_named_barrier, max(0, .L_ZN2at6native6invokeIZZZNS0_12_GLOBAL__N_121bessel_y1_kernel_cudaERNS_18TensorIteratorBaseEENKUlvE_clEvENKUlvE_clEvEUldE_i15function_traitsIS7_EEENT1_11result_typeERKT_PrKPcPKT0_PKN3c1010ScalarTypeEi.num_named_barrier)
	.set _ZN2at6native32elementwise_kernel_manual_unrollILi128ELi4EZNS0_15gpu_kernel_implIZZZNS0_12_GLOBAL__N_121bessel_y1_kernel_cudaERNS_18TensorIteratorBaseEENKUlvE_clEvENKUlvE_clEvEUldE_EEvS5_RKT_EUlibE_EEviT1_.private_seg_size, 0+max(.L_ZN2at6native6invokeIZZZNS0_12_GLOBAL__N_121bessel_y1_kernel_cudaERNS_18TensorIteratorBaseEENKUlvE_clEvENKUlvE_clEvEUldE_i15function_traitsIS7_EEENT1_11result_typeERKT_PrKPcPKT0_PKN3c1010ScalarTypeEi.private_seg_size)
	.set _ZN2at6native32elementwise_kernel_manual_unrollILi128ELi4EZNS0_15gpu_kernel_implIZZZNS0_12_GLOBAL__N_121bessel_y1_kernel_cudaERNS_18TensorIteratorBaseEENKUlvE_clEvENKUlvE_clEvEUldE_EEvS5_RKT_EUlibE_EEviT1_.uses_vcc, or(1, .L_ZN2at6native6invokeIZZZNS0_12_GLOBAL__N_121bessel_y1_kernel_cudaERNS_18TensorIteratorBaseEENKUlvE_clEvENKUlvE_clEvEUldE_i15function_traitsIS7_EEENT1_11result_typeERKT_PrKPcPKT0_PKN3c1010ScalarTypeEi.uses_vcc)
	.set _ZN2at6native32elementwise_kernel_manual_unrollILi128ELi4EZNS0_15gpu_kernel_implIZZZNS0_12_GLOBAL__N_121bessel_y1_kernel_cudaERNS_18TensorIteratorBaseEENKUlvE_clEvENKUlvE_clEvEUldE_EEvS5_RKT_EUlibE_EEviT1_.uses_flat_scratch, or(0, .L_ZN2at6native6invokeIZZZNS0_12_GLOBAL__N_121bessel_y1_kernel_cudaERNS_18TensorIteratorBaseEENKUlvE_clEvENKUlvE_clEvEUldE_i15function_traitsIS7_EEENT1_11result_typeERKT_PrKPcPKT0_PKN3c1010ScalarTypeEi.uses_flat_scratch)
	.set _ZN2at6native32elementwise_kernel_manual_unrollILi128ELi4EZNS0_15gpu_kernel_implIZZZNS0_12_GLOBAL__N_121bessel_y1_kernel_cudaERNS_18TensorIteratorBaseEENKUlvE_clEvENKUlvE_clEvEUldE_EEvS5_RKT_EUlibE_EEviT1_.has_dyn_sized_stack, or(0, .L_ZN2at6native6invokeIZZZNS0_12_GLOBAL__N_121bessel_y1_kernel_cudaERNS_18TensorIteratorBaseEENKUlvE_clEvENKUlvE_clEvEUldE_i15function_traitsIS7_EEENT1_11result_typeERKT_PrKPcPKT0_PKN3c1010ScalarTypeEi.has_dyn_sized_stack)
	.set _ZN2at6native32elementwise_kernel_manual_unrollILi128ELi4EZNS0_15gpu_kernel_implIZZZNS0_12_GLOBAL__N_121bessel_y1_kernel_cudaERNS_18TensorIteratorBaseEENKUlvE_clEvENKUlvE_clEvEUldE_EEvS5_RKT_EUlibE_EEviT1_.has_recursion, or(0, .L_ZN2at6native6invokeIZZZNS0_12_GLOBAL__N_121bessel_y1_kernel_cudaERNS_18TensorIteratorBaseEENKUlvE_clEvENKUlvE_clEvEUldE_i15function_traitsIS7_EEENT1_11result_typeERKT_PrKPcPKT0_PKN3c1010ScalarTypeEi.has_recursion)
	.set _ZN2at6native32elementwise_kernel_manual_unrollILi128ELi4EZNS0_15gpu_kernel_implIZZZNS0_12_GLOBAL__N_121bessel_y1_kernel_cudaERNS_18TensorIteratorBaseEENKUlvE_clEvENKUlvE_clEvEUldE_EEvS5_RKT_EUlibE_EEviT1_.has_indirect_call, or(0, .L_ZN2at6native6invokeIZZZNS0_12_GLOBAL__N_121bessel_y1_kernel_cudaERNS_18TensorIteratorBaseEENKUlvE_clEvENKUlvE_clEvEUldE_i15function_traitsIS7_EEENT1_11result_typeERKT_PrKPcPKT0_PKN3c1010ScalarTypeEi.has_indirect_call)
	.section	.AMDGPU.csdata,"",@progbits
; Kernel info:
; codeLenInByte = 19732
; TotalNumSgprs: 47
; NumVgprs: 84
; ScratchSize: 0
; MemoryBound: 0
; FloatMode: 240
; IeeeMode: 1
; LDSByteSize: 0 bytes/workgroup (compile time only)
; SGPRBlocks: 0
; VGPRBlocks: 10
; NumSGPRsForWavesPerEU: 47
; NumVGPRsForWavesPerEU: 84
; Occupancy: 10
; WaveLimiterHint : 0
; COMPUTE_PGM_RSRC2:SCRATCH_EN: 0
; COMPUTE_PGM_RSRC2:USER_SGPR: 6
; COMPUTE_PGM_RSRC2:TRAP_HANDLER: 0
; COMPUTE_PGM_RSRC2:TGID_X_EN: 1
; COMPUTE_PGM_RSRC2:TGID_Y_EN: 0
; COMPUTE_PGM_RSRC2:TGID_Z_EN: 0
; COMPUTE_PGM_RSRC2:TIDIG_COMP_CNT: 0
	.text
	.p2align	2                               ; -- Begin function _ZN2at6native6invokeIZZZNS0_12_GLOBAL__N_121bessel_y1_kernel_cudaERNS_18TensorIteratorBaseEENKUlvE_clEvENKUlvE_clEvEUldE_j15function_traitsIS7_EEENT1_11result_typeERKT_PrKPcPKT0_PKN3c1010ScalarTypeEi
	.type	_ZN2at6native6invokeIZZZNS0_12_GLOBAL__N_121bessel_y1_kernel_cudaERNS_18TensorIteratorBaseEENKUlvE_clEvENKUlvE_clEvEUldE_j15function_traitsIS7_EEENT1_11result_typeERKT_PrKPcPKT0_PKN3c1010ScalarTypeEi,@function
_ZN2at6native6invokeIZZZNS0_12_GLOBAL__N_121bessel_y1_kernel_cudaERNS_18TensorIteratorBaseEENKUlvE_clEvENKUlvE_clEvEUldE_j15function_traitsIS7_EEENT1_11result_typeERKT_PrKPcPKT0_PKN3c1010ScalarTypeEi: ; @_ZN2at6native6invokeIZZZNS0_12_GLOBAL__N_121bessel_y1_kernel_cudaERNS_18TensorIteratorBaseEENKUlvE_clEvENKUlvE_clEvEUldE_j15function_traitsIS7_EEENT1_11result_typeERKT_PrKPcPKT0_PKN3c1010ScalarTypeEi
; %bb.0:
	s_waitcnt vmcnt(0) expcnt(0) lgkmcnt(0)
	v_mov_b32_e32 v4, 10
	v_add_co_u32 v0, vcc_lo, v0, v2
	v_add_co_ci_u32_e64 v1, null, 0, v1, vcc_lo
	v_cmp_gt_i16_sdwa s4, v3, v4 src0_sel:BYTE_0 src1_sel:DWORD
	s_mov_b32 s5, 0
                                        ; implicit-def: $vgpr4_vgpr5
	s_and_saveexec_b32 s6, s4
	s_xor_b32 s4, exec_lo, s6
	s_cbranch_execz .LBB10_51
; %bb.1:
	v_mov_b32_e32 v2, 25
	s_mov_b32 s8, 0
	s_mov_b32 s7, 0
                                        ; implicit-def: $vgpr4_vgpr5
	v_cmp_gt_i16_sdwa s6, v3, v2 src0_sel:BYTE_0 src1_sel:DWORD
	s_and_saveexec_b32 s9, s6
	s_xor_b32 s6, exec_lo, s9
	s_cbranch_execz .LBB10_94
; %bb.2:
	v_mov_b32_e32 v2, 28
	s_mov_b32 s9, 0
                                        ; implicit-def: $vgpr4_vgpr5
	v_cmp_gt_i16_sdwa s7, v3, v2 src0_sel:BYTE_0 src1_sel:DWORD
	s_and_saveexec_b32 s10, s7
	s_xor_b32 s7, exec_lo, s10
	s_cbranch_execz .LBB10_18
; %bb.3:
	v_mov_b32_e32 v2, 43
	s_mov_b32 s10, 0
	s_mov_b32 s11, 0
                                        ; implicit-def: $vgpr4_vgpr5
	v_cmp_gt_i16_sdwa s8, v3, v2 src0_sel:BYTE_0 src1_sel:DWORD
	s_and_saveexec_b32 s9, s8
	s_xor_b32 s8, exec_lo, s9
	s_cbranch_execz .LBB10_13
; %bb.4:
	v_mov_b32_e32 v2, 45
	s_mov_b32 s9, 0
                                        ; implicit-def: $vgpr4_vgpr5
	v_cmp_gt_i16_sdwa s11, v3, v2 src0_sel:BYTE_0 src1_sel:DWORD
	s_and_saveexec_b32 s12, s11
	s_xor_b32 s11, exec_lo, s12
	s_cbranch_execz .LBB10_8
; %bb.5:
	v_mov_b32_e32 v2, 46
	s_mov_b32 s12, -1
                                        ; implicit-def: $vgpr4_vgpr5
	v_cmp_eq_u16_sdwa s13, v3, v2 src0_sel:BYTE_0 src1_sel:DWORD
	s_and_saveexec_b32 s10, s13
	s_cbranch_execz .LBB10_7
; %bb.6:
	flat_load_dword v2, v[0:1]
	s_mov_b32 s9, exec_lo
	s_xor_b32 s12, exec_lo, -1
	s_waitcnt vmcnt(0) lgkmcnt(0)
	v_lshlrev_b32_e32 v2, 16, v2
	v_cvt_f64_f32_e32 v[4:5], v2
.LBB10_7:
	s_or_b32 exec_lo, exec_lo, s10
	s_and_b32 s10, s9, exec_lo
	s_and_b32 s9, s12, exec_lo
                                        ; implicit-def: $vgpr3
.LBB10_8:
	s_andn2_saveexec_b32 s11, s11
	s_cbranch_execz .LBB10_12
; %bb.9:
	v_mov_b32_e32 v2, 44
	s_mov_b32 s13, -1
	s_mov_b32 s14, s10
                                        ; implicit-def: $vgpr4_vgpr5
	v_cmp_eq_u16_sdwa s15, v3, v2 src0_sel:BYTE_0 src1_sel:DWORD
	s_and_saveexec_b32 s12, s15
	s_cbranch_execz .LBB10_11
; %bb.10:
	flat_load_ubyte v4, v[0:1]
	s_or_b32 s14, s10, exec_lo
	s_xor_b32 s13, exec_lo, -1
	s_waitcnt vmcnt(0) lgkmcnt(0)
	v_lshlrev_b32_e32 v2, 23, v4
	v_cmp_ne_u32_e32 vcc_lo, 0xff, v4
	v_cvt_f64_f32_e32 v[2:3], v2
	v_cndmask_b32_e32 v2, 0x20000000, v2, vcc_lo
	v_cndmask_b32_e32 v3, 0x7ff80000, v3, vcc_lo
	v_cmp_ne_u32_e32 vcc_lo, 0, v4
	v_cndmask_b32_e32 v5, 0x38000000, v3, vcc_lo
	v_cndmask_b32_e32 v4, 0, v2, vcc_lo
.LBB10_11:
	s_or_b32 exec_lo, exec_lo, s12
	s_andn2_b32 s10, s10, exec_lo
	s_and_b32 s12, s14, exec_lo
	s_andn2_b32 s9, s9, exec_lo
	s_and_b32 s13, s13, exec_lo
	s_or_b32 s10, s10, s12
	s_or_b32 s9, s9, s13
.LBB10_12:
	s_or_b32 exec_lo, exec_lo, s11
	s_and_b32 s11, s10, exec_lo
	s_and_b32 s10, s9, exec_lo
                                        ; implicit-def: $vgpr3
.LBB10_13:
	s_andn2_saveexec_b32 s8, s8
	s_cbranch_execz .LBB10_17
; %bb.14:
	v_mov_b32_e32 v2, 29
	s_mov_b32 s9, -1
	s_mov_b32 s12, s11
                                        ; implicit-def: $vgpr4_vgpr5
	v_cmp_eq_u16_sdwa s14, v3, v2 src0_sel:BYTE_0 src1_sel:DWORD
	s_and_saveexec_b32 s13, s14
	s_cbranch_execz .LBB10_16
; %bb.15:
	flat_load_dwordx2 v[2:3], v[0:1]
	s_or_b32 s12, s11, exec_lo
	s_xor_b32 s9, exec_lo, -1
	s_waitcnt vmcnt(0) lgkmcnt(0)
	v_cvt_f64_u32_e32 v[3:4], v3
	v_cvt_f64_u32_e32 v[5:6], v2
	v_ldexp_f64 v[3:4], v[3:4], 32
	v_add_f64 v[4:5], v[3:4], v[5:6]
.LBB10_16:
	s_or_b32 exec_lo, exec_lo, s13
	s_andn2_b32 s11, s11, exec_lo
	s_and_b32 s12, s12, exec_lo
	s_andn2_b32 s10, s10, exec_lo
	s_and_b32 s9, s9, exec_lo
	s_or_b32 s11, s11, s12
	s_or_b32 s10, s10, s9
.LBB10_17:
	s_or_b32 exec_lo, exec_lo, s8
	s_and_b32 s9, s11, exec_lo
	s_and_b32 s8, s10, exec_lo
                                        ; implicit-def: $vgpr3
.LBB10_18:
	s_andn2_saveexec_b32 s7, s7
	s_cbranch_execz .LBB10_36
; %bb.19:
	v_mov_b32_e32 v2, 26
                                        ; implicit-def: $vgpr4_vgpr5
	v_cmp_gt_i16_sdwa s10, v3, v2 src0_sel:BYTE_0 src1_sel:DWORD
	s_and_saveexec_b32 s11, s10
	s_xor_b32 s10, exec_lo, s11
	s_cbranch_execz .LBB10_25
; %bb.20:
	v_mov_b32_e32 v2, 27
                                        ; implicit-def: $vgpr4_vgpr5
	v_cmp_gt_i16_sdwa s11, v3, v2 src0_sel:BYTE_0 src1_sel:DWORD
	s_and_saveexec_b32 s12, s11
	s_xor_b32 s11, exec_lo, s12
	s_cbranch_execz .LBB10_22
; %bb.21:
	flat_load_dword v2, v[0:1]
	s_waitcnt vmcnt(0) lgkmcnt(0)
	v_cvt_f64_u32_e32 v[4:5], v2
.LBB10_22:
	s_andn2_saveexec_b32 s11, s11
	s_cbranch_execz .LBB10_24
; %bb.23:
	flat_load_ushort v2, v[0:1]
	s_waitcnt vmcnt(0) lgkmcnt(0)
	v_cvt_f64_u32_e32 v[4:5], v2
.LBB10_24:
	s_or_b32 exec_lo, exec_lo, s11
.LBB10_25:
	s_andn2_saveexec_b32 s10, s10
	s_cbranch_execz .LBB10_35
; %bb.26:
	flat_load_ubyte v2, v[0:1]
	s_mov_b32 s11, 0
	s_mov_b32 s12, exec_lo
	s_waitcnt vmcnt(0) lgkmcnt(0)
	v_cmpx_lt_i16_e32 0x7f, v2
	s_xor_b32 s12, exec_lo, s12
	s_cbranch_execz .LBB10_30
; %bb.27:
	s_mov_b32 s11, -1
	s_mov_b32 s13, exec_lo
	v_cmpx_eq_u16_e32 0x80, v2
; %bb.28:
	s_xor_b32 s11, exec_lo, -1
; %bb.29:
	s_or_b32 exec_lo, exec_lo, s13
	s_and_b32 s11, s11, exec_lo
.LBB10_30:
	s_or_saveexec_b32 s12, s12
	v_bfrev_b32_e32 v4, 4
	v_mov_b32_e32 v5, 0x7ff80000
	s_xor_b32 exec_lo, exec_lo, s12
; %bb.31:
	v_cmp_ne_u16_e32 vcc_lo, 0, v2
	v_mov_b32_e32 v4, 0
	v_mov_b32_e32 v5, 0
	s_andn2_b32 s11, s11, exec_lo
	s_and_b32 s13, vcc_lo, exec_lo
	s_or_b32 s11, s11, s13
; %bb.32:
	s_or_b32 exec_lo, exec_lo, s12
	s_and_saveexec_b32 s12, s11
	s_cbranch_execz .LBB10_34
; %bb.33:
	v_and_b32_e32 v3, 0xffff, v2
	v_lshlrev_b32_e32 v2, 24, v2
	v_and_b32_e32 v4, 7, v3
	v_bfe_u32 v7, v3, 3, 4
	v_and_b32_e32 v2, 0x80000000, v2
	v_ffbh_u32_e32 v5, v4
	v_cmp_eq_u32_e32 vcc_lo, 0, v7
	v_min_u32_e32 v5, 32, v5
	v_subrev_nc_u32_e32 v6, 28, v5
	v_sub_nc_u32_e32 v5, 29, v5
	v_lshlrev_b32_e32 v3, v6, v3
	v_cndmask_b32_e32 v5, v7, v5, vcc_lo
	v_and_b32_e32 v3, 7, v3
	v_cndmask_b32_e32 v3, v4, v3, vcc_lo
	v_lshl_add_u32 v4, v5, 23, 0x3b800000
	v_lshlrev_b32_e32 v3, 20, v3
	v_or3_b32 v2, v2, v4, v3
	v_cvt_f64_f32_e32 v[4:5], v2
.LBB10_34:
	s_or_b32 exec_lo, exec_lo, s12
.LBB10_35:
	s_or_b32 exec_lo, exec_lo, s10
	s_or_b32 s9, s9, exec_lo
.LBB10_36:
	s_or_b32 exec_lo, exec_lo, s7
	s_and_b32 s7, s9, exec_lo
	s_and_b32 s8, s8, exec_lo
                                        ; implicit-def: $vgpr3
	s_andn2_saveexec_b32 s6, s6
	s_cbranch_execnz .LBB10_95
.LBB10_37:
	s_or_b32 exec_lo, exec_lo, s6
	s_and_saveexec_b32 s6, s8
	s_cbranch_execnz .LBB10_122
.LBB10_38:
	s_or_b32 exec_lo, exec_lo, s6
	s_and_saveexec_b32 s6, s5
	s_xor_b32 s5, exec_lo, s6
	s_cbranch_execz .LBB10_40
.LBB10_39:
	flat_load_ubyte v0, v[0:1]
	v_mov_b32_e32 v4, 0
	s_or_b32 s7, s7, exec_lo
	s_waitcnt vmcnt(0) lgkmcnt(0)
	v_cmp_ne_u16_e32 vcc_lo, 0, v0
	v_cndmask_b32_e64 v5, 0, 0x3ff00000, vcc_lo
.LBB10_40:
	s_or_b32 exec_lo, exec_lo, s5
	s_and_b32 s5, s7, exec_lo
                                        ; implicit-def: $vgpr3
                                        ; implicit-def: $vgpr0_vgpr1
	s_andn2_saveexec_b32 s4, s4
	s_cbranch_execnz .LBB10_52
.LBB10_41:
	s_or_b32 exec_lo, exec_lo, s4
                                        ; implicit-def: $vgpr0_vgpr1
	s_and_saveexec_b32 s16, s5
	s_cbranch_execz .LBB10_93
.LBB10_42:
                                        ; implicit-def: $vgpr0_vgpr1
	s_mov_b32 s4, exec_lo
	s_waitcnt vmcnt(0) lgkmcnt(0)
	v_cmpx_ge_f64_e32 0x40140000, v[4:5]
	s_xor_b32 s6, exec_lo, s4
	s_cbranch_execz .LBB10_48
; %bb.43:
	v_mov_b32_e32 v0, 0
	v_mov_b32_e32 v1, 0xfff00000
	s_mov_b32 s7, exec_lo
	v_cmpx_neq_f64_e32 0, v[4:5]
	s_cbranch_execz .LBB10_47
; %bb.44:
	v_mov_b32_e32 v0, 0
	v_mov_b32_e32 v1, 0x7ff80000
	s_mov_b32 s8, exec_lo
	v_cmpx_nge_f64_e32 0, v[4:5]
	s_cbranch_execz .LBB10_46
; %bb.45:
	v_frexp_mant_f64_e32 v[0:1], v[4:5]
	s_mov_b32 s5, 0x3fe55555
	s_mov_b32 s4, 0x55555555
	;; [unrolled: 1-line block ×8, first 2 shown]
	v_frexp_exp_i32_f64_e32 v24, v[4:5]
	s_mov_b32 s18, 0xfefa39ef
	s_mov_b32 s19, 0x3fe62e42
	v_cmp_gt_f64_e32 vcc_lo, s[4:5], v[0:1]
	s_mov_b32 s4, 0x55555780
	v_cndmask_b32_e64 v2, 0, 1, vcc_lo
	v_ldexp_f64 v[0:1], v[0:1], v2
	v_add_f64 v[2:3], v[0:1], 1.0
	v_add_f64 v[10:11], v[0:1], -1.0
	v_rcp_f64_e32 v[6:7], v[2:3]
	v_add_f64 v[12:13], v[2:3], -1.0
	v_add_f64 v[0:1], v[0:1], -v[12:13]
	v_fma_f64 v[8:9], -v[2:3], v[6:7], 1.0
	v_fma_f64 v[6:7], v[8:9], v[6:7], v[6:7]
	v_fma_f64 v[8:9], -v[2:3], v[6:7], 1.0
	v_fma_f64 v[6:7], v[8:9], v[6:7], v[6:7]
	v_mul_f64 v[8:9], v[10:11], v[6:7]
	v_mul_f64 v[14:15], v[2:3], v[8:9]
	v_fma_f64 v[2:3], v[8:9], v[2:3], -v[14:15]
	v_fma_f64 v[0:1], v[8:9], v[0:1], v[2:3]
	v_add_f64 v[2:3], v[14:15], v[0:1]
	v_add_f64 v[12:13], v[10:11], -v[2:3]
	v_add_f64 v[14:15], v[2:3], -v[14:15]
	;; [unrolled: 1-line block ×5, first 2 shown]
	v_add_f64 v[0:1], v[0:1], v[2:3]
	v_add_f64 v[0:1], v[12:13], v[0:1]
	v_mul_f64 v[12:13], v[4:5], v[4:5]
	v_mul_f64 v[0:1], v[6:7], v[0:1]
	v_add_f64 v[2:3], v[8:9], v[0:1]
	v_mul_f64 v[6:7], v[2:3], v[2:3]
	v_ldexp_f64 v[22:23], v[2:3], 1
	v_fma_f64 v[10:11], v[6:7], s[12:13], s[10:11]
	s_mov_b32 s10, 0xd7f4df2e
	s_mov_b32 s11, 0x3fc7474d
	;; [unrolled: 1-line block ×4, first 2 shown]
	v_mul_f64 v[20:21], v[2:3], v[6:7]
	v_fma_f64 v[16:17], v[12:13], 0, s[12:13]
	s_mov_b32 s12, 0xdd701b2
	s_mov_b32 s13, 0x410f5eda
	v_add_f64 v[2:3], v[2:3], -v[8:9]
	v_fma_f64 v[10:11], v[6:7], v[10:11], s[10:11]
	s_mov_b32 s10, 0xa93f7ac2
	s_mov_b32 s11, 0x40829269
	v_fma_f64 v[14:15], v[12:13], 0, s[10:11]
	s_mov_b32 s10, 0x16291751
	s_mov_b32 s11, 0x3fcc71c0
	;; [unrolled: 3-line block ×3, first 2 shown]
	v_add_f64 v[0:1], v[0:1], -v[2:3]
	v_fma_f64 v[10:11], v[6:7], v[10:11], s[10:11]
	s_mov_b32 s10, 0xbe58ef7f
	s_mov_b32 s11, 0x410cc160
	v_fma_f64 v[14:15], v[12:13], v[14:15], s[10:11]
	s_mov_b32 s10, 0x9b27acf1
	s_mov_b32 s11, 0x3fd24924
	;; [unrolled: 3-line block ×3, first 2 shown]
	v_ldexp_f64 v[0:1], v[0:1], 1
	v_fma_f64 v[10:11], v[6:7], v[10:11], s[10:11]
	s_mov_b32 s10, 0x62f9b6c5
	s_mov_b32 s11, 0x41d2d2be
	v_fma_f64 v[18:19], v[12:13], 0, s[10:11]
	v_fma_f64 v[14:15], v[12:13], v[14:15], s[12:13]
	s_mov_b32 s10, 0x998ef7b6
	s_mov_b32 s11, 0x3fd99999
	;; [unrolled: 1-line block ×4, first 2 shown]
	v_fma_f64 v[16:17], v[12:13], v[16:17], s[14:15]
	s_mov_b32 s14, 0x8076ffa8
	s_mov_b32 s15, 0x429146fb
	v_fma_f64 v[10:11], v[6:7], v[10:11], s[10:11]
	s_mov_b32 s10, 0x58836521
	s_mov_b32 s11, 0xc262d72d
	v_fma_f64 v[18:19], v[12:13], v[18:19], s[10:11]
	v_fma_f64 v[14:15], v[12:13], v[14:15], s[12:13]
	s_mov_b32 s10, 0xfda99316
	s_mov_b32 s12, 0x4cda4fc5
	;; [unrolled: 1-line block ×4, first 2 shown]
	v_fma_f64 v[16:17], v[12:13], v[16:17], s[14:15]
	s_mov_b32 s14, 0x3eccf45f
	s_mov_b32 s15, 0x43064b0a
	v_fma_f64 v[6:7], v[6:7], v[10:11], s[4:5]
	s_mov_b32 s4, 0xb0910fef
	s_mov_b32 s5, 0x42da0954
	v_fma_f64 v[10:11], v[12:13], v[18:19], s[4:5]
	v_fma_f64 v[14:15], v[12:13], v[14:15], s[10:11]
	;; [unrolled: 1-line block ×3, first 2 shown]
	s_mov_b32 s4, 0x37a1b083
	s_mov_b32 s10, 0xd71d1e4e
	;; [unrolled: 1-line block ×6, first 2 shown]
	v_fma_f64 v[16:17], v[12:13], v[16:17], s[14:15]
	s_mov_b32 s14, 0xf4653f81
	s_mov_b32 s15, 0x4373e0bf
	v_mul_f64 v[6:7], v[20:21], v[6:7]
	v_subrev_co_ci_u32_e64 v20, null, 0, v24, vcc_lo
	v_fma_f64 v[10:11], v[12:13], v[10:11], s[4:5]
	v_fma_f64 v[14:15], v[12:13], v[14:15], s[10:11]
	;; [unrolled: 1-line block ×3, first 2 shown]
	v_cvt_f64_i32_e32 v[20:21], v20
	s_mov_b32 s4, 0xb7366b1
	s_mov_b32 s10, 0xc547a488
	;; [unrolled: 1-line block ×6, first 2 shown]
	v_fma_f64 v[16:17], v[12:13], v[16:17], s[14:15]
	s_mov_b32 s14, 0xa697c482
	s_mov_b32 s15, 0x432a2b42
	v_add_f64 v[8:9], v[22:23], v[6:7]
	v_fma_f64 v[10:11], v[12:13], v[10:11], s[4:5]
	v_fma_f64 v[14:15], v[12:13], v[14:15], s[10:11]
	;; [unrolled: 1-line block ×3, first 2 shown]
	v_mul_f64 v[24:25], v[20:21], s[18:19]
	s_mov_b32 s4, 0x90f6747f
	s_mov_b32 s10, 0x5dde2b17
	;; [unrolled: 1-line block ×6, first 2 shown]
	v_add_f64 v[2:3], v[8:9], -v[22:23]
	v_fma_f64 v[10:11], v[12:13], v[10:11], s[10:11]
	v_fma_f64 v[14:15], v[12:13], v[14:15], s[4:5]
	;; [unrolled: 1-line block ×4, first 2 shown]
	v_fma_f64 v[16:17], v[20:21], s[18:19], -v[24:25]
	s_mov_b32 s4, 0x3b39803f
	s_mov_b32 s5, 0x3c7abc9e
	v_add_f64 v[2:3], v[6:7], -v[2:3]
	v_div_scale_f64 v[6:7], null, v[14:15], v[14:15], v[10:11]
	v_div_scale_f64 v[22:23], null, v[12:13], v[12:13], v[18:19]
	v_fma_f64 v[16:17], v[20:21], s[4:5], v[16:17]
	v_add_f64 v[0:1], v[0:1], v[2:3]
	v_rcp_f64_e32 v[2:3], v[6:7]
	v_rcp_f64_e32 v[20:21], v[22:23]
	v_add_f64 v[26:27], v[24:25], v[16:17]
	v_add_f64 v[28:29], v[8:9], v[0:1]
	v_fma_f64 v[30:31], -v[6:7], v[2:3], 1.0
	v_fma_f64 v[32:33], -v[22:23], v[20:21], 1.0
	v_add_f64 v[24:25], v[26:27], -v[24:25]
	v_add_f64 v[34:35], v[26:27], v[28:29]
	v_add_f64 v[8:9], v[28:29], -v[8:9]
	v_fma_f64 v[2:3], v[2:3], v[30:31], v[2:3]
	v_fma_f64 v[20:21], v[20:21], v[32:33], v[20:21]
	v_div_scale_f64 v[32:33], null, v[4:5], v[4:5], -1.0
	v_add_f64 v[16:17], v[16:17], -v[24:25]
	v_div_scale_f64 v[24:25], vcc_lo, v[10:11], v[14:15], v[10:11]
	v_add_f64 v[30:31], v[34:35], -v[26:27]
	v_add_f64 v[0:1], v[0:1], -v[8:9]
	v_fma_f64 v[36:37], -v[6:7], v[2:3], 1.0
	v_fma_f64 v[38:39], -v[22:23], v[20:21], 1.0
	v_rcp_f64_e32 v[50:51], v[32:33]
	v_add_f64 v[48:49], v[34:35], -v[30:31]
	v_add_f64 v[8:9], v[28:29], -v[30:31]
	v_fma_f64 v[2:3], v[2:3], v[36:37], v[2:3]
	v_div_scale_f64 v[36:37], s4, v[18:19], v[12:13], v[18:19]
	v_fma_f64 v[20:21], v[20:21], v[38:39], v[20:21]
	v_fma_f64 v[28:29], -v[32:33], v[50:51], 1.0
	v_add_f64 v[26:27], v[26:27], -v[48:49]
	v_add_f64 v[48:49], v[16:17], v[0:1]
	v_mul_f64 v[30:31], v[24:25], v[2:3]
	v_mul_f64 v[38:39], v[36:37], v[20:21]
	v_add_f64 v[8:9], v[8:9], v[26:27]
	v_fma_f64 v[26:27], v[50:51], v[28:29], v[50:51]
	v_fma_f64 v[6:7], -v[6:7], v[30:31], v[24:25]
	v_add_f64 v[24:25], v[48:49], -v[16:17]
	v_fma_f64 v[22:23], -v[22:23], v[38:39], v[36:37]
	v_add_f64 v[8:9], v[48:49], v[8:9]
	v_fma_f64 v[28:29], -v[32:33], v[26:27], 1.0
	v_div_fmas_f64 v[2:3], v[6:7], v[2:3], v[30:31]
	s_mov_b32 vcc_lo, s4
	v_add_f64 v[0:1], v[0:1], -v[24:25]
	v_div_fmas_f64 v[6:7], v[22:23], v[20:21], v[38:39]
	v_add_f64 v[20:21], v[48:49], -v[24:25]
	v_div_scale_f64 v[30:31], vcc_lo, -1.0, v[4:5], -1.0
	s_mov_b32 s4, 0x4189822c
	s_mov_b32 s5, 0xc02d5d2b
	v_add_f64 v[22:23], v[34:35], v[8:9]
	v_fma_f64 v[26:27], v[26:27], v[28:29], v[26:27]
	v_div_fixup_f64 v[2:3], v[2:3], v[14:15], v[10:11]
	v_div_fixup_f64 v[6:7], v[6:7], v[12:13], v[18:19]
	v_add_f64 v[12:13], v[16:17], -v[20:21]
	v_fma_f64 v[20:21], v[4:5], v[4:5], s[4:5]
	s_mov_b32 s4, 0x6072a432
	s_mov_b32 s5, 0xc0489bf6
	v_add_f64 v[16:17], v[22:23], -v[34:35]
	v_mul_f64 v[18:19], v[30:31], v[26:27]
	v_mul_f64 v[6:7], v[4:5], v[6:7]
	v_add_f64 v[0:1], v[0:1], v[12:13]
	v_add_f64 v[8:9], v[8:9], -v[16:17]
	v_fma_f64 v[12:13], -v[32:33], v[18:19], v[30:31]
	v_fma_f64 v[16:17], v[4:5], v[4:5], s[4:5]
	s_mov_b32 s4, 0x6dc9c883
	s_mov_b32 s5, 0x3fe45f30
	v_mul_f64 v[6:7], v[20:21], v[6:7]
	v_add_f64 v[0:1], v[0:1], v[8:9]
	v_div_fmas_f64 v[8:9], v[12:13], v[26:27], v[18:19]
	v_mul_f64 v[6:7], v[16:17], v[6:7]
	v_add_f64 v[0:1], v[22:23], v[0:1]
	v_div_fixup_f64 v[8:9], v[8:9], v[4:5], -1.0
	v_fma_f64 v[0:1], v[6:7], v[0:1], v[8:9]
	v_mul_f64 v[0:1], v[0:1], s[4:5]
	v_fma_f64 v[0:1], v[4:5], v[2:3], v[0:1]
.LBB10_46:
	s_or_b32 exec_lo, exec_lo, s8
.LBB10_47:
	s_or_b32 exec_lo, exec_lo, s7
                                        ; implicit-def: $vgpr4_vgpr5
.LBB10_48:
	s_andn2_saveexec_b32 s17, s6
	s_cbranch_execz .LBB10_130
; %bb.49:
	s_mov_b32 s4, 0x7f3321d2
	s_mov_b32 s5, 0xc002d97c
                                        ; implicit-def: $vgpr20
                                        ; implicit-def: $vgpr2_vgpr3
                                        ; implicit-def: $vgpr6_vgpr7
	v_add_f64 v[0:1], v[4:5], s[4:5]
	v_cmp_ngt_f64_e64 s4, 0x41d00000, |v[0:1]|
	v_trig_preop_f64 v[16:17], |v[0:1]|, 0
	v_trig_preop_f64 v[14:15], |v[0:1]|, 1
	v_ldexp_f64 v[18:19], |v[0:1]|, 0xffffff80
	v_trig_preop_f64 v[12:13], |v[0:1]|, 2
	v_and_b32_e32 v22, 0x7fffffff, v1
	s_and_saveexec_b32 s5, s4
	s_xor_b32 s5, exec_lo, s5
	s_cbranch_execz .LBB10_123
; %bb.50:
	v_cmp_le_f64_e64 vcc_lo, 0x7b000000, |v[0:1]|
	v_mov_b32_e32 v33, 0
	s_mov_b32 s6, 0x54442d18
	s_mov_b32 s7, 0x3ff921fb
	;; [unrolled: 1-line block ×4, first 2 shown]
	v_cndmask_b32_e32 v3, v22, v19, vcc_lo
	v_cndmask_b32_e32 v2, v0, v18, vcc_lo
	v_mul_f64 v[6:7], v[16:17], v[2:3]
	v_mul_f64 v[8:9], v[14:15], v[2:3]
	;; [unrolled: 1-line block ×3, first 2 shown]
	v_fma_f64 v[10:11], v[16:17], v[2:3], -v[6:7]
	v_fma_f64 v[31:32], v[14:15], v[2:3], -v[8:9]
	;; [unrolled: 1-line block ×3, first 2 shown]
	v_add_f64 v[20:21], v[8:9], v[10:11]
	v_add_f64 v[23:24], v[20:21], -v[8:9]
	v_add_f64 v[27:28], v[6:7], v[20:21]
	v_add_f64 v[25:26], v[20:21], -v[23:24]
	v_add_f64 v[10:11], v[10:11], -v[23:24]
	v_ldexp_f64 v[23:24], v[27:28], -2
	v_add_f64 v[6:7], v[27:28], -v[6:7]
	v_add_f64 v[8:9], v[8:9], -v[25:26]
	v_add_f64 v[25:26], v[29:30], v[31:32]
	v_cmp_neq_f64_e64 vcc_lo, 0x7ff00000, |v[23:24]|
	v_add_f64 v[6:7], v[20:21], -v[6:7]
	v_add_f64 v[8:9], v[10:11], v[8:9]
	v_fract_f64_e32 v[10:11], v[23:24]
	v_add_f64 v[20:21], v[25:26], v[8:9]
	v_ldexp_f64 v[10:11], v[10:11], 2
	v_add_f64 v[23:24], v[6:7], v[20:21]
	v_cndmask_b32_e32 v11, 0, v11, vcc_lo
	v_cndmask_b32_e32 v10, 0, v10, vcc_lo
	v_add_f64 v[27:28], v[23:24], v[10:11]
	v_add_f64 v[6:7], v[23:24], -v[6:7]
	v_cmp_gt_f64_e32 vcc_lo, 0, v[27:28]
	v_add_f64 v[27:28], v[25:26], -v[29:30]
	v_add_f64 v[6:7], v[20:21], -v[6:7]
	v_cndmask_b32_e64 v34, 0, 0x40100000, vcc_lo
	v_add_f64 v[38:39], v[25:26], -v[27:28]
	v_add_f64 v[27:28], v[31:32], -v[27:28]
	v_add_f64 v[10:11], v[10:11], v[33:34]
	v_add_f64 v[34:35], v[20:21], -v[25:26]
	v_add_f64 v[31:32], v[29:30], -v[38:39]
	v_add_f64 v[36:37], v[23:24], v[10:11]
	;; [unrolled: 3-line block ×3, first 2 shown]
	v_cvt_i32_f64_e32 v36, v[36:37]
	v_add_f64 v[25:26], v[25:26], -v[48:49]
	v_cvt_f64_i32_e32 v[34:35], v36
	v_add_f64 v[8:9], v[8:9], v[25:26]
	v_add_f64 v[10:11], v[10:11], -v[34:35]
	v_add_f64 v[8:9], v[27:28], v[8:9]
	v_add_f64 v[25:26], v[23:24], v[10:11]
	v_add_f64 v[2:3], v[2:3], v[8:9]
	v_add_f64 v[8:9], v[25:26], -v[10:11]
	v_cmp_le_f64_e32 vcc_lo, 0.5, v[25:26]
	v_add_f64 v[2:3], v[6:7], v[2:3]
	v_add_f64 v[6:7], v[23:24], -v[8:9]
	v_cndmask_b32_e64 v34, 0, 0x3ff00000, vcc_lo
	v_add_co_ci_u32_e64 v20, null, 0, v36, vcc_lo
	v_add_f64 v[2:3], v[2:3], v[6:7]
	v_add_f64 v[6:7], v[25:26], -v[33:34]
	v_add_f64 v[8:9], v[6:7], v[2:3]
	v_mul_f64 v[10:11], v[8:9], s[6:7]
	v_add_f64 v[6:7], v[8:9], -v[6:7]
	v_fma_f64 v[23:24], v[8:9], s[6:7], -v[10:11]
	v_add_f64 v[2:3], v[2:3], -v[6:7]
	v_fma_f64 v[6:7], v[8:9], s[8:9], v[23:24]
	v_fma_f64 v[6:7], v[2:3], s[6:7], v[6:7]
	v_add_f64 v[2:3], v[10:11], v[6:7]
	v_add_f64 v[8:9], v[2:3], -v[10:11]
	v_add_f64 v[6:7], v[6:7], -v[8:9]
	s_andn2_saveexec_b32 s5, s5
	s_cbranch_execz .LBB10_125
	s_branch .LBB10_124
.LBB10_51:
	s_andn2_saveexec_b32 s4, s4
	s_cbranch_execz .LBB10_41
.LBB10_52:
	v_mov_b32_e32 v2, 4
                                        ; implicit-def: $vgpr4_vgpr5
	v_cmp_gt_i16_sdwa s6, v3, v2 src0_sel:BYTE_0 src1_sel:DWORD
	s_and_saveexec_b32 s7, s6
	s_xor_b32 s6, exec_lo, s7
	s_cbranch_execz .LBB10_74
; %bb.53:
	v_mov_b32_e32 v2, 7
                                        ; implicit-def: $vgpr4_vgpr5
	v_cmp_gt_i16_sdwa s7, v3, v2 src0_sel:BYTE_0 src1_sel:DWORD
	s_and_saveexec_b32 s8, s7
	s_xor_b32 s7, exec_lo, s8
	s_cbranch_execz .LBB10_63
; %bb.54:
	;; [unrolled: 7-line block ×4, first 2 shown]
	flat_load_dwordx2 v[4:5], v[0:1]
                                        ; implicit-def: $vgpr0_vgpr1
.LBB10_57:
	s_andn2_saveexec_b32 s9, s9
	s_cbranch_execz .LBB10_59
; %bb.58:
	flat_load_dword v0, v[0:1]
	s_waitcnt vmcnt(0) lgkmcnt(0)
	v_cvt_f64_f32_e32 v[4:5], v0
.LBB10_59:
	s_or_b32 exec_lo, exec_lo, s9
                                        ; implicit-def: $vgpr0_vgpr1
.LBB10_60:
	s_andn2_saveexec_b32 s8, s8
	s_cbranch_execz .LBB10_62
; %bb.61:
	flat_load_dword v0, v[0:1]
	s_waitcnt vmcnt(0) lgkmcnt(0)
	v_cvt_f32_f16_e32 v0, v0
	v_cvt_f64_f32_e32 v[4:5], v0
.LBB10_62:
	s_or_b32 exec_lo, exec_lo, s8
                                        ; implicit-def: $vgpr0_vgpr1
                                        ; implicit-def: $vgpr3
.LBB10_63:
	s_andn2_saveexec_b32 s7, s7
	s_cbranch_execz .LBB10_73
; %bb.64:
	v_mov_b32_e32 v2, 5
                                        ; implicit-def: $vgpr4_vgpr5
	v_cmp_gt_i16_sdwa s8, v3, v2 src0_sel:BYTE_0 src1_sel:DWORD
	s_and_saveexec_b32 s9, s8
	s_xor_b32 s8, exec_lo, s9
	s_cbranch_execz .LBB10_70
; %bb.65:
	v_mov_b32_e32 v2, 6
                                        ; implicit-def: $vgpr4_vgpr5
	v_cmp_gt_i16_sdwa s9, v3, v2 src0_sel:BYTE_0 src1_sel:DWORD
	s_and_saveexec_b32 s10, s9
	s_xor_b32 s9, exec_lo, s10
	s_cbranch_execz .LBB10_67
; %bb.66:
	s_waitcnt vmcnt(0) lgkmcnt(0)
	flat_load_dwordx2 v[4:5], v[0:1]
                                        ; implicit-def: $vgpr0_vgpr1
.LBB10_67:
	s_andn2_saveexec_b32 s9, s9
	s_cbranch_execz .LBB10_69
; %bb.68:
	flat_load_dword v0, v[0:1]
	s_waitcnt vmcnt(0) lgkmcnt(0)
	v_cvt_f64_f32_e32 v[4:5], v0
.LBB10_69:
	s_or_b32 exec_lo, exec_lo, s9
                                        ; implicit-def: $vgpr0_vgpr1
.LBB10_70:
	s_andn2_saveexec_b32 s8, s8
	s_cbranch_execz .LBB10_72
; %bb.71:
	flat_load_ushort v0, v[0:1]
	s_waitcnt vmcnt(0) lgkmcnt(0)
	v_cvt_f32_f16_e32 v0, v0
	v_cvt_f64_f32_e32 v[4:5], v0
.LBB10_72:
	s_or_b32 exec_lo, exec_lo, s8
.LBB10_73:
	s_or_b32 exec_lo, exec_lo, s7
                                        ; implicit-def: $vgpr3
                                        ; implicit-def: $vgpr0_vgpr1
.LBB10_74:
	s_andn2_saveexec_b32 s6, s6
	s_cbranch_execz .LBB10_92
; %bb.75:
	v_mov_b32_e32 v2, 1
                                        ; implicit-def: $vgpr4_vgpr5
	v_cmp_gt_i16_sdwa s7, v3, v2 src0_sel:BYTE_0 src1_sel:DWORD
	s_and_saveexec_b32 s8, s7
	s_xor_b32 s7, exec_lo, s8
	s_cbranch_execz .LBB10_85
; %bb.76:
	v_mov_b32_e32 v2, 2
                                        ; implicit-def: $vgpr4_vgpr5
	v_cmp_gt_i16_sdwa s8, v3, v2 src0_sel:BYTE_0 src1_sel:DWORD
	s_and_saveexec_b32 s9, s8
	s_xor_b32 s8, exec_lo, s9
	;; [unrolled: 7-line block ×3, first 2 shown]
	s_cbranch_execz .LBB10_79
; %bb.78:
	flat_load_dwordx2 v[0:1], v[0:1]
	s_waitcnt vmcnt(0) lgkmcnt(0)
	v_cvt_f64_i32_e32 v[1:2], v1
	v_cvt_f64_u32_e32 v[3:4], v0
	v_ldexp_f64 v[1:2], v[1:2], 32
	v_add_f64 v[4:5], v[1:2], v[3:4]
                                        ; implicit-def: $vgpr0_vgpr1
.LBB10_79:
	s_andn2_saveexec_b32 s9, s9
	s_cbranch_execz .LBB10_81
; %bb.80:
	flat_load_dword v0, v[0:1]
	s_waitcnt vmcnt(0) lgkmcnt(0)
	v_cvt_f64_i32_e32 v[4:5], v0
.LBB10_81:
	s_or_b32 exec_lo, exec_lo, s9
                                        ; implicit-def: $vgpr0_vgpr1
.LBB10_82:
	s_andn2_saveexec_b32 s8, s8
	s_cbranch_execz .LBB10_84
; %bb.83:
	flat_load_sshort v0, v[0:1]
	s_waitcnt vmcnt(0) lgkmcnt(0)
	v_cvt_f64_i32_e32 v[4:5], v0
.LBB10_84:
	s_or_b32 exec_lo, exec_lo, s8
                                        ; implicit-def: $vgpr0_vgpr1
                                        ; implicit-def: $vgpr3
.LBB10_85:
	s_andn2_saveexec_b32 s7, s7
	s_cbranch_execz .LBB10_91
; %bb.86:
	v_mov_b32_e32 v2, 0
                                        ; implicit-def: $vgpr4_vgpr5
	v_cmp_gt_i16_sdwa s8, v3, v2 src0_sel:BYTE_0 src1_sel:DWORD
	s_and_saveexec_b32 s9, s8
	s_xor_b32 s8, exec_lo, s9
	s_cbranch_execz .LBB10_88
; %bb.87:
	flat_load_sbyte v0, v[0:1]
	s_waitcnt vmcnt(0) lgkmcnt(0)
	v_cvt_f64_i32_e32 v[4:5], v0
                                        ; implicit-def: $vgpr0_vgpr1
.LBB10_88:
	s_andn2_saveexec_b32 s8, s8
	s_cbranch_execz .LBB10_90
; %bb.89:
	flat_load_ubyte v0, v[0:1]
	s_waitcnt vmcnt(0) lgkmcnt(0)
	v_cvt_f64_u32_e32 v[4:5], v0
.LBB10_90:
	s_or_b32 exec_lo, exec_lo, s8
.LBB10_91:
	s_or_b32 exec_lo, exec_lo, s7
.LBB10_92:
	s_or_b32 exec_lo, exec_lo, s6
	s_or_b32 s5, s5, exec_lo
	s_or_b32 exec_lo, exec_lo, s4
                                        ; implicit-def: $vgpr0_vgpr1
	s_and_saveexec_b32 s16, s5
	s_cbranch_execnz .LBB10_42
.LBB10_93:
	s_or_b32 exec_lo, exec_lo, s16
	s_waitcnt vmcnt(0) lgkmcnt(0)
	s_setpc_b64 s[30:31]
.LBB10_94:
	s_andn2_saveexec_b32 s6, s6
	s_cbranch_execz .LBB10_37
.LBB10_95:
	v_mov_b32_e32 v2, 22
	s_mov_b32 s9, s7
                                        ; implicit-def: $vgpr4_vgpr5
	v_cmp_gt_i16_sdwa s5, v3, v2 src0_sel:BYTE_0 src1_sel:DWORD
	s_and_saveexec_b32 s10, s5
	s_xor_b32 s5, exec_lo, s10
	s_cbranch_execz .LBB10_113
; %bb.96:
	v_mov_b32_e32 v2, 23
                                        ; implicit-def: $vgpr4_vgpr5
	v_cmp_gt_i16_sdwa s9, v3, v2 src0_sel:BYTE_0 src1_sel:DWORD
	s_and_saveexec_b32 s10, s9
	s_xor_b32 s9, exec_lo, s10
	s_cbranch_execz .LBB10_110
; %bb.97:
	v_mov_b32_e32 v2, 24
                                        ; implicit-def: $vgpr4_vgpr5
	v_cmp_gt_i16_sdwa s10, v3, v2 src0_sel:BYTE_0 src1_sel:DWORD
	s_and_saveexec_b32 s11, s10
	s_xor_b32 s10, exec_lo, s11
	s_cbranch_execz .LBB10_107
; %bb.98:
	flat_load_ubyte v2, v[0:1]
	s_mov_b32 s11, 0
	s_mov_b32 s12, exec_lo
	s_waitcnt vmcnt(0) lgkmcnt(0)
	v_cmpx_lt_i16_e32 0x7f, v2
	s_xor_b32 s12, exec_lo, s12
	s_cbranch_execz .LBB10_102
; %bb.99:
	s_mov_b32 s11, -1
	s_mov_b32 s13, exec_lo
	v_cmpx_eq_u16_e32 0x80, v2
; %bb.100:
	s_xor_b32 s11, exec_lo, -1
; %bb.101:
	s_or_b32 exec_lo, exec_lo, s13
	s_and_b32 s11, s11, exec_lo
.LBB10_102:
	s_or_saveexec_b32 s12, s12
	v_bfrev_b32_e32 v4, 4
	v_mov_b32_e32 v5, 0x7ff80000
	s_xor_b32 exec_lo, exec_lo, s12
; %bb.103:
	v_cmp_ne_u16_e32 vcc_lo, 0, v2
	v_mov_b32_e32 v4, 0
	v_mov_b32_e32 v5, 0
	s_andn2_b32 s11, s11, exec_lo
	s_and_b32 s13, vcc_lo, exec_lo
	s_or_b32 s11, s11, s13
; %bb.104:
	s_or_b32 exec_lo, exec_lo, s12
	s_and_saveexec_b32 s12, s11
	s_cbranch_execz .LBB10_106
; %bb.105:
	v_and_b32_e32 v3, 0xffff, v2
	v_lshlrev_b32_e32 v2, 24, v2
	v_and_b32_e32 v4, 3, v3
	v_bfe_u32 v7, v3, 2, 5
	v_and_b32_e32 v2, 0x80000000, v2
	v_ffbh_u32_e32 v5, v4
	v_cmp_eq_u32_e32 vcc_lo, 0, v7
	v_min_u32_e32 v5, 32, v5
	v_subrev_nc_u32_e32 v6, 29, v5
	v_sub_nc_u32_e32 v5, 30, v5
	v_lshlrev_b32_e32 v3, v6, v3
	v_cndmask_b32_e32 v5, v7, v5, vcc_lo
	v_and_b32_e32 v3, 3, v3
	v_cndmask_b32_e32 v3, v4, v3, vcc_lo
	v_lshl_add_u32 v4, v5, 23, 0x37800000
	v_lshlrev_b32_e32 v3, 21, v3
	v_or3_b32 v2, v2, v4, v3
	v_cvt_f64_f32_e32 v[4:5], v2
.LBB10_106:
	s_or_b32 exec_lo, exec_lo, s12
.LBB10_107:
	s_andn2_saveexec_b32 s10, s10
	s_cbranch_execz .LBB10_109
; %bb.108:
	flat_load_ubyte v2, v[0:1]
	s_waitcnt vmcnt(0) lgkmcnt(0)
	v_lshlrev_b32_e32 v2, 24, v2
	v_and_b32_e32 v3, 0x7f000000, v2
	v_ffbh_u32_e32 v4, v3
	v_add_nc_u32_e32 v6, 0x1000000, v3
	v_cmp_ne_u32_e32 vcc_lo, 0, v3
	v_min_u32_e32 v4, 32, v4
	v_sub_nc_u32_e64 v4, v4, 4 clamp
	v_lshlrev_b32_e32 v5, v4, v3
	v_lshlrev_b32_e32 v4, 23, v4
	v_lshrrev_b32_e32 v5, 4, v5
	v_sub_nc_u32_e32 v4, v5, v4
	v_ashrrev_i32_e32 v5, 8, v6
	v_add_nc_u32_e32 v4, 0x3c000000, v4
	v_and_or_b32 v4, 0x7f800000, v5, v4
	v_cndmask_b32_e32 v3, 0, v4, vcc_lo
	v_and_or_b32 v2, 0x80000000, v2, v3
	v_cvt_f64_f32_e32 v[4:5], v2
.LBB10_109:
	s_or_b32 exec_lo, exec_lo, s10
.LBB10_110:
	s_andn2_saveexec_b32 s9, s9
	s_cbranch_execz .LBB10_112
; %bb.111:
	flat_load_ubyte v2, v[0:1]
	s_waitcnt vmcnt(0) lgkmcnt(0)
	v_lshlrev_b32_e32 v3, 25, v2
	v_lshlrev_b16 v2, 8, v2
	v_lshrrev_b32_e32 v4, 4, v3
	v_and_or_b32 v5, 0x7f00, v2, 0.5
	v_cmp_gt_u32_e32 vcc_lo, 0x8000000, v3
	v_bfe_i32 v2, v2, 0, 16
	v_or_b32_e32 v4, 0x70000000, v4
	v_add_f32_e32 v5, -0.5, v5
	v_mul_f32_e32 v4, 0x7800000, v4
	v_cndmask_b32_e32 v3, v4, v5, vcc_lo
	v_and_or_b32 v2, 0x80000000, v2, v3
	v_cvt_f64_f32_e32 v[4:5], v2
.LBB10_112:
	s_or_b32 exec_lo, exec_lo, s9
	s_or_b32 s9, s7, exec_lo
                                        ; implicit-def: $vgpr3
.LBB10_113:
	s_or_saveexec_b32 s5, s5
	s_mov_b32 s10, 0
	s_mov_b32 s11, s8
	s_xor_b32 exec_lo, exec_lo, s5
	s_cbranch_execz .LBB10_121
; %bb.114:
	v_mov_b32_e32 v2, 14
	s_mov_b32 s10, s8
	s_mov_b32 s11, s9
                                        ; implicit-def: $vgpr4_vgpr5
	v_cmp_gt_i16_sdwa s12, v3, v2 src0_sel:BYTE_0 src1_sel:DWORD
	s_and_saveexec_b32 s13, s12
	s_xor_b32 s12, exec_lo, s13
	s_cbranch_execz .LBB10_118
; %bb.115:
	v_mov_b32_e32 v2, 15
	s_mov_b32 s10, -1
	s_mov_b32 s11, s9
                                        ; implicit-def: $vgpr4_vgpr5
	v_cmp_eq_u16_sdwa s14, v3, v2 src0_sel:BYTE_0 src1_sel:DWORD
	s_and_saveexec_b32 s13, s14
	s_cbranch_execz .LBB10_117
; %bb.116:
	flat_load_ushort v2, v[0:1]
	s_or_b32 s11, s9, exec_lo
	s_xor_b32 s10, exec_lo, -1
	s_waitcnt vmcnt(0) lgkmcnt(0)
	v_lshlrev_b32_e32 v2, 16, v2
	v_cvt_f64_f32_e32 v[4:5], v2
.LBB10_117:
	s_or_b32 exec_lo, exec_lo, s13
	s_andn2_b32 s13, s9, exec_lo
	s_and_b32 s11, s11, exec_lo
	s_andn2_b32 s14, s8, exec_lo
	s_and_b32 s10, s10, exec_lo
	s_or_b32 s11, s13, s11
	s_or_b32 s10, s14, s10
                                        ; implicit-def: $vgpr3
.LBB10_118:
	s_or_saveexec_b32 s12, s12
	s_mov_b32 s13, 0
	s_xor_b32 exec_lo, exec_lo, s12
; %bb.119:
	v_mov_b32_e32 v2, 11
	s_andn2_b32 s10, s10, exec_lo
	s_mov_b32 s13, exec_lo
	v_cmp_ne_u16_sdwa s14, v3, v2 src0_sel:BYTE_0 src1_sel:DWORD
	s_and_b32 s14, s14, exec_lo
	s_or_b32 s10, s10, s14
; %bb.120:
	s_or_b32 exec_lo, exec_lo, s12
	s_andn2_b32 s9, s9, exec_lo
	s_and_b32 s11, s11, exec_lo
	s_and_b32 s12, s10, exec_lo
	s_or_b32 s9, s9, s11
	s_andn2_b32 s11, s8, exec_lo
	s_and_b32 s10, s13, exec_lo
	s_or_b32 s11, s11, s12
.LBB10_121:
	s_or_b32 exec_lo, exec_lo, s5
	s_andn2_b32 s5, s7, exec_lo
	s_and_b32 s7, s9, exec_lo
	s_andn2_b32 s8, s8, exec_lo
	s_and_b32 s9, s11, exec_lo
	s_or_b32 s7, s5, s7
	s_and_b32 s5, s10, exec_lo
	s_or_b32 s8, s8, s9
	s_or_b32 exec_lo, exec_lo, s6
	s_and_saveexec_b32 s6, s8
	s_cbranch_execz .LBB10_38
.LBB10_122:
	s_trap 2
	; divergent unreachable
	s_andn2_b32 s5, s5, exec_lo
	s_or_b32 exec_lo, exec_lo, s6
	s_and_saveexec_b32 s6, s5
	s_xor_b32 s5, exec_lo, s6
	s_cbranch_execnz .LBB10_39
	s_branch .LBB10_40
.LBB10_123:
	s_andn2_saveexec_b32 s5, s5
	s_cbranch_execz .LBB10_125
.LBB10_124:
	s_mov_b32 s6, 0x6dc9c883
	s_mov_b32 s7, 0x3fe45f30
	;; [unrolled: 1-line block ×3, first 2 shown]
	v_mul_f64 v[2:3], |v[0:1]|, s[6:7]
	s_mov_b32 s6, 0x54442d18
	s_mov_b32 s7, 0xbff921fb
	;; [unrolled: 1-line block ×3, first 2 shown]
	v_rndne_f64_e32 v[8:9], v[2:3]
	v_fma_f64 v[2:3], v[8:9], s[6:7], |v[0:1]|
	v_mul_f64 v[6:7], v[8:9], s[8:9]
	s_mov_b32 s6, 0x252049c0
	s_mov_b32 s7, 0xb97b839a
	v_fma_f64 v[20:21], v[8:9], s[8:9], v[2:3]
	v_add_f64 v[10:11], v[2:3], v[6:7]
	s_mov_b32 s9, 0x3c91a626
	v_add_f64 v[2:3], v[2:3], -v[10:11]
	v_add_f64 v[10:11], v[10:11], -v[20:21]
	v_add_f64 v[2:3], v[2:3], v[6:7]
	v_fma_f64 v[6:7], v[8:9], s[8:9], v[6:7]
	v_add_f64 v[2:3], v[10:11], v[2:3]
	v_add_f64 v[2:3], v[2:3], -v[6:7]
	v_fma_f64 v[6:7], v[8:9], s[6:7], v[2:3]
	v_add_f64 v[2:3], v[20:21], v[6:7]
	v_add_f64 v[10:11], v[2:3], -v[20:21]
	v_cvt_i32_f64_e32 v20, v[8:9]
	v_add_f64 v[6:7], v[6:7], -v[10:11]
.LBB10_125:
	s_or_b32 exec_lo, exec_lo, s5
                                        ; implicit-def: $vgpr21
                                        ; implicit-def: $vgpr8_vgpr9
                                        ; implicit-def: $vgpr10_vgpr11
	s_and_saveexec_b32 s5, s4
	s_xor_b32 s4, exec_lo, s5
	s_cbranch_execz .LBB10_127
; %bb.126:
	v_cmp_le_f64_e64 vcc_lo, 0x7b000000, |v[0:1]|
	v_mov_b32_e32 v31, 0
	s_mov_b32 s6, 0x54442d18
	s_mov_b32 s7, 0x3ff921fb
	;; [unrolled: 1-line block ×4, first 2 shown]
	v_cndmask_b32_e32 v9, v22, v19, vcc_lo
	v_cndmask_b32_e32 v8, v0, v18, vcc_lo
	v_mul_f64 v[10:11], v[16:17], v[8:9]
	v_mul_f64 v[18:19], v[14:15], v[8:9]
	;; [unrolled: 1-line block ×3, first 2 shown]
	v_fma_f64 v[16:17], v[16:17], v[8:9], -v[10:11]
	v_fma_f64 v[14:15], v[14:15], v[8:9], -v[18:19]
	;; [unrolled: 1-line block ×3, first 2 shown]
	v_add_f64 v[21:22], v[18:19], v[16:17]
	v_add_f64 v[23:24], v[21:22], -v[18:19]
	v_add_f64 v[27:28], v[10:11], v[21:22]
	v_add_f64 v[25:26], v[21:22], -v[23:24]
	v_add_f64 v[16:17], v[16:17], -v[23:24]
	v_ldexp_f64 v[23:24], v[27:28], -2
	v_add_f64 v[10:11], v[27:28], -v[10:11]
	v_add_f64 v[18:19], v[18:19], -v[25:26]
	v_add_f64 v[25:26], v[29:30], v[14:15]
	v_cmp_neq_f64_e64 vcc_lo, 0x7ff00000, |v[23:24]|
	v_add_f64 v[10:11], v[21:22], -v[10:11]
	v_add_f64 v[16:17], v[16:17], v[18:19]
	v_fract_f64_e32 v[18:19], v[23:24]
	v_add_f64 v[21:22], v[25:26], v[16:17]
	v_ldexp_f64 v[18:19], v[18:19], 2
	v_add_f64 v[23:24], v[10:11], v[21:22]
	v_cndmask_b32_e32 v19, 0, v19, vcc_lo
	v_cndmask_b32_e32 v18, 0, v18, vcc_lo
	v_add_f64 v[27:28], v[23:24], v[18:19]
	v_add_f64 v[10:11], v[23:24], -v[10:11]
	v_cmp_gt_f64_e32 vcc_lo, 0, v[27:28]
	v_add_f64 v[27:28], v[25:26], -v[29:30]
	v_add_f64 v[10:11], v[21:22], -v[10:11]
	v_cndmask_b32_e64 v32, 0, 0x40100000, vcc_lo
	v_add_f64 v[36:37], v[25:26], -v[27:28]
	v_add_f64 v[14:15], v[14:15], -v[27:28]
	v_add_f64 v[18:19], v[18:19], v[31:32]
	v_add_f64 v[32:33], v[21:22], -v[25:26]
	v_add_f64 v[27:28], v[29:30], -v[36:37]
	v_add_f64 v[34:35], v[23:24], v[18:19]
	;; [unrolled: 3-line block ×3, first 2 shown]
	v_cvt_i32_f64_e32 v34, v[34:35]
	v_add_f64 v[25:26], v[25:26], -v[38:39]
	v_cvt_f64_i32_e32 v[32:33], v34
	v_add_f64 v[16:17], v[16:17], v[25:26]
	v_add_f64 v[18:19], v[18:19], -v[32:33]
	v_add_f64 v[12:13], v[14:15], v[16:17]
	v_add_f64 v[14:15], v[23:24], v[18:19]
	;; [unrolled: 1-line block ×3, first 2 shown]
	v_add_f64 v[12:13], v[14:15], -v[18:19]
	v_cmp_le_f64_e32 vcc_lo, 0.5, v[14:15]
	v_add_f64 v[8:9], v[10:11], v[8:9]
	v_add_f64 v[10:11], v[23:24], -v[12:13]
	v_cndmask_b32_e64 v32, 0, 0x3ff00000, vcc_lo
	v_add_co_ci_u32_e64 v21, null, 0, v34, vcc_lo
	v_add_f64 v[8:9], v[8:9], v[10:11]
	v_add_f64 v[10:11], v[14:15], -v[31:32]
	v_add_f64 v[12:13], v[10:11], v[8:9]
	v_mul_f64 v[14:15], v[12:13], s[6:7]
	v_add_f64 v[10:11], v[12:13], -v[10:11]
	v_fma_f64 v[16:17], v[12:13], s[6:7], -v[14:15]
	v_add_f64 v[8:9], v[8:9], -v[10:11]
	v_fma_f64 v[10:11], v[12:13], s[8:9], v[16:17]
	v_fma_f64 v[10:11], v[8:9], s[6:7], v[10:11]
	v_add_f64 v[8:9], v[14:15], v[10:11]
	v_add_f64 v[12:13], v[8:9], -v[14:15]
	v_add_f64 v[10:11], v[10:11], -v[12:13]
	s_andn2_saveexec_b32 s4, s4
	s_cbranch_execnz .LBB10_128
	s_branch .LBB10_129
.LBB10_127:
	s_andn2_saveexec_b32 s4, s4
	s_cbranch_execz .LBB10_129
.LBB10_128:
	s_mov_b32 s6, 0x6dc9c883
	s_mov_b32 s7, 0x3fe45f30
	;; [unrolled: 1-line block ×3, first 2 shown]
	v_mul_f64 v[8:9], |v[0:1]|, s[6:7]
	s_mov_b32 s6, 0x54442d18
	s_mov_b32 s7, 0xbff921fb
	;; [unrolled: 1-line block ×3, first 2 shown]
	v_rndne_f64_e32 v[12:13], v[8:9]
	v_fma_f64 v[8:9], v[12:13], s[6:7], |v[0:1]|
	v_mul_f64 v[10:11], v[12:13], s[8:9]
	s_mov_b32 s6, 0x252049c0
	s_mov_b32 s7, 0xb97b839a
	v_cvt_i32_f64_e32 v21, v[12:13]
	v_fma_f64 v[16:17], v[12:13], s[8:9], v[8:9]
	v_add_f64 v[14:15], v[8:9], v[10:11]
	s_mov_b32 s9, 0x3c91a626
	v_add_f64 v[8:9], v[8:9], -v[14:15]
	v_add_f64 v[14:15], v[14:15], -v[16:17]
	v_add_f64 v[8:9], v[8:9], v[10:11]
	v_fma_f64 v[10:11], v[12:13], s[8:9], v[10:11]
	v_add_f64 v[8:9], v[14:15], v[8:9]
	v_add_f64 v[8:9], v[8:9], -v[10:11]
	v_fma_f64 v[10:11], v[12:13], s[6:7], v[8:9]
	v_add_f64 v[8:9], v[16:17], v[10:11]
	v_add_f64 v[14:15], v[8:9], -v[16:17]
	v_add_f64 v[10:11], v[10:11], -v[14:15]
.LBB10_129:
	s_or_b32 exec_lo, exec_lo, s4
	v_div_scale_f64 v[12:13], null, v[4:5], v[4:5], 0x40140000
	v_div_scale_f64 v[18:19], vcc_lo, 0x40140000, v[4:5], 0x40140000
	s_mov_b32 s4, 0x4c6c651b
	s_mov_b32 s6, 0x13443d69
	;; [unrolled: 1-line block ×8, first 2 shown]
	v_mul_f64 v[26:27], v[2:3], v[2:3]
	s_mov_b32 s12, 0xf9a43bb8
	s_mov_b32 s13, 0x3de5e0b2
	;; [unrolled: 1-line block ×6, first 2 shown]
	v_mul_f64 v[48:49], v[8:9], v[8:9]
	s_mov_b32 s22, 0x19e83e5c
	s_mov_b32 s23, 0xbf2a01a0
	v_rcp_f64_e32 v[14:15], v[12:13]
	s_mov_b32 s20, 0x16c16967
	s_mov_b32 s21, 0xbf56c16c
	s_mov_b32 s24, 0x11110bb3
	s_mov_b32 s25, 0x3f811111
	v_mul_f64 v[28:29], v[26:27], 0.5
	v_mul_f64 v[70:71], v[2:3], -v[26:27]
	v_mul_f64 v[68:69], v[26:27], v[26:27]
	v_mul_f64 v[64:65], v[48:49], 0.5
	v_fma_f64 v[16:17], -v[12:13], v[14:15], 1.0
	v_add_f64 v[34:35], -v[28:29], 1.0
	v_add_f64 v[80:81], -v[64:65], 1.0
	v_fma_f64 v[14:15], v[14:15], v[16:17], v[14:15]
	v_add_f64 v[50:51], -v[34:35], 1.0
	v_fma_f64 v[16:17], -v[12:13], v[14:15], 1.0
	v_add_f64 v[28:29], v[50:51], -v[28:29]
	v_fma_f64 v[14:15], v[14:15], v[16:17], v[14:15]
	v_fma_f64 v[28:29], v[2:3], -v[6:7], v[28:29]
	v_mul_f64 v[16:17], v[18:19], v[14:15]
	v_fma_f64 v[12:13], -v[12:13], v[16:17], v[18:19]
	v_div_fmas_f64 v[12:13], v[12:13], v[14:15], v[16:17]
	v_div_fixup_f64 v[12:13], v[12:13], v[4:5], 0x40140000
	v_mul_f64 v[14:15], v[12:13], v[12:13]
	v_fma_f64 v[16:17], v[14:15], 0, s[6:7]
	v_fma_f64 v[18:19], v[14:15], 0, s[4:5]
	v_fma_f64 v[22:23], v[14:15], 0, s[8:9]
	s_mov_b32 s4, 0xa3fec4b6
	s_mov_b32 s6, 0x5948aa83
	s_mov_b32 s8, 0xc66d8fd6
	s_mov_b32 s5, 0x3fb2b948
	s_mov_b32 s7, 0x3fb19fdd
	s_mov_b32 s9, 0x4013edb5
	v_fma_f64 v[24:25], v[14:15], 0, s[10:11]
	s_mov_b32 s10, 0xa20e5f6f
	s_mov_b32 s11, 0x409081cb
	v_fma_f64 v[16:17], v[14:15], v[16:17], s[6:7]
	v_fma_f64 v[18:19], v[14:15], v[18:19], s[4:5]
	v_fma_f64 v[22:23], v[14:15], v[22:23], s[8:9]
	s_mov_b32 s4, 0xc21596d6
	s_mov_b32 s6, 0xb850eed6
	s_mov_b32 s8, 0x9acf1c67
	s_mov_b32 s5, 0x3ff208fe
	s_mov_b32 s7, 0x3ff1aea9
	s_mov_b32 s9, 0x4052f4b9
	v_fma_f64 v[24:25], v[14:15], v[24:25], s[10:11]
	s_mov_b32 s10, 0x1bfdfe81
	s_mov_b32 s11, 0x40b37a69
	;; [unrolled: 12-line block ×6, first 2 shown]
	v_fma_f64 v[30:31], v[26:27], s[8:9], s[6:7]
	v_fma_f64 v[16:17], v[14:15], v[16:17], 1.0
	v_fma_f64 v[18:19], v[14:15], v[18:19], 1.0
	v_fma_f64 v[22:23], v[14:15], v[22:23], s[4:5]
	s_mov_b32 s4, 0x4d159eb5
	s_mov_b32 s5, 0x403934ff
	v_fma_f64 v[24:25], v[14:15], v[24:25], s[10:11]
	s_mov_b32 s10, 0xa17f65f6
	s_mov_b32 s11, 0xbe927e4f
	v_fma_f64 v[30:31], v[26:27], v[30:31], s[10:11]
	v_div_scale_f64 v[32:33], null, v[16:17], v[16:17], v[18:19]
	v_fma_f64 v[14:15], v[14:15], v[22:23], s[4:5]
	s_mov_b32 s4, 0xb42fdfa7
	s_mov_b32 s5, 0xbe5ae600
	v_fma_f64 v[22:23], v[26:27], s[12:13], s[4:5]
	v_fma_f64 v[66:67], v[48:49], s[12:13], s[4:5]
	v_cmp_gt_f64_e64 s4, 0x10000000, v[4:5]
	s_mov_b32 s12, 0x55555555
	s_mov_b32 s13, 0x3fa55555
	v_fma_f64 v[30:31], v[26:27], v[30:31], s[14:15]
	v_rcp_f64_e32 v[36:37], v[32:33]
	v_div_scale_f64 v[38:39], null, v[24:25], v[24:25], v[14:15]
	v_fma_f64 v[22:23], v[26:27], v[22:23], s[18:19]
	v_fma_f64 v[66:67], v[48:49], v[66:67], s[18:19]
	;; [unrolled: 1-line block ×3, first 2 shown]
	v_rcp_f64_e32 v[52:53], v[38:39]
	v_fma_f64 v[54:55], -v[32:33], v[36:37], 1.0
	v_fma_f64 v[22:23], v[26:27], v[22:23], s[22:23]
	v_fma_f64 v[66:67], v[48:49], v[66:67], s[22:23]
	;; [unrolled: 1-line block ×4, first 2 shown]
	v_fma_f64 v[50:51], -v[38:39], v[52:53], 1.0
	v_mul_f64 v[54:55], v[6:7], 0.5
	v_fma_f64 v[22:23], v[26:27], v[22:23], s[24:25]
	v_fma_f64 v[28:29], v[68:69], v[30:31], v[28:29]
	v_div_scale_f64 v[30:31], vcc_lo, v[18:19], v[16:17], v[18:19]
	v_fma_f64 v[82:83], -v[32:33], v[36:37], 1.0
	v_fma_f64 v[50:51], v[52:53], v[50:51], v[52:53]
	v_cndmask_b32_e64 v52, 0, 0x100, s4
	v_fma_f64 v[22:23], v[70:71], v[22:23], v[54:55]
	v_add_f64 v[54:55], -v[80:81], 1.0
	v_ldexp_f64 v[4:5], v[4:5], v52
	v_fma_f64 v[52:53], v[48:49], s[8:9], s[6:7]
	v_add_f64 v[28:29], v[34:35], v[28:29]
	v_fma_f64 v[36:37], v[36:37], v[82:83], v[36:37]
	v_fma_f64 v[68:69], -v[38:39], v[50:51], 1.0
	v_mul_f64 v[82:83], v[10:11], 0.5
	v_fma_f64 v[6:7], v[26:27], v[22:23], -v[6:7]
	v_mul_f64 v[22:23], v[8:9], -v[48:49]
	v_add_f64 v[54:55], v[54:55], -v[64:65]
	v_fma_f64 v[64:65], v[48:49], v[66:67], s[24:25]
	v_rsq_f64_e32 v[26:27], v[4:5]
	v_fma_f64 v[52:53], v[48:49], v[52:53], s[10:11]
	v_mul_f64 v[66:67], v[30:31], v[36:37]
	v_fma_f64 v[50:51], v[50:51], v[68:69], v[50:51]
	v_div_scale_f64 v[68:69], s5, v[14:15], v[24:25], v[14:15]
	v_fma_f64 v[64:65], v[22:23], v[64:65], v[82:83]
	v_fma_f64 v[52:53], v[48:49], v[52:53], s[14:15]
	v_mul_f64 v[82:83], v[4:5], v[26:27]
	v_mul_f64 v[26:27], v[26:27], 0.5
	v_fma_f64 v[30:31], -v[32:33], v[66:67], v[30:31]
	v_mul_f64 v[32:33], v[68:69], v[50:51]
	v_fma_f64 v[64:65], v[48:49], v[64:65], -v[10:11]
	v_fma_f64 v[10:11], v[8:9], -v[10:11], v[54:55]
	v_fma_f64 v[52:53], v[48:49], v[52:53], s[20:21]
	v_div_fmas_f64 v[30:31], v[30:31], v[36:37], v[66:67]
	s_mov_b32 vcc_lo, s5
	v_fma_f64 v[38:39], -v[38:39], v[32:33], v[68:69]
	v_fma_f64 v[68:69], -v[26:27], v[82:83], 0.5
	v_cmp_class_f64_e64 s5, v[0:1], 0x1f8
	v_and_b32_e32 v0, 1, v21
	v_lshlrev_b32_e32 v21, 30, v21
	v_fma_f64 v[52:53], v[48:49], v[52:53], s[12:13]
	v_mul_f64 v[48:49], v[48:49], v[48:49]
	s_mov_b32 s13, 0xbfc55555
	v_cmp_eq_u32_e64 s6, 0, v0
	v_fma_f64 v[6:7], v[70:71], s[12:13], v[6:7]
	v_fma_f64 v[22:23], v[22:23], s[12:13], v[64:65]
	v_div_fmas_f64 v[32:33], v[38:39], v[50:51], v[32:33]
	v_fma_f64 v[54:55], v[82:83], v[68:69], v[82:83]
	v_fma_f64 v[26:27], v[26:27], v[68:69], v[26:27]
	;; [unrolled: 1-line block ×3, first 2 shown]
	v_add_f64 v[2:3], v[2:3], -v[6:7]
	v_add_f64 v[8:9], v[8:9], -v[22:23]
	v_and_b32_e32 v22, 1, v20
	v_cmp_eq_u32_e32 vcc_lo, 0, v22
	v_div_fixup_f64 v[6:7], v[32:33], v[24:25], v[14:15]
	v_fma_f64 v[36:37], -v[54:55], v[54:55], v[4:5]
	v_add_f64 v[10:11], v[80:81], v[10:11]
	v_cndmask_b32_e32 v2, v28, v2, vcc_lo
	v_xor_b32_e32 v0, 0x80000000, v9
	v_and_b32_e32 v9, 0x80000000, v21
	v_mul_f64 v[6:7], v[12:13], v[6:7]
	v_fma_f64 v[14:15], v[36:37], v[26:27], v[54:55]
	v_div_fixup_f64 v[12:13], v[30:31], v[16:17], v[18:19]
	v_cndmask_b32_e64 v0, v0, v11, s6
	v_cndmask_b32_e64 v10, v8, v10, s6
	v_xor_b32_e32 v11, v0, v9
	v_cndmask_b32_e64 v10, 0, v10, s5
	v_cndmask_b32_e64 v0, 0, v2, s5
	v_lshlrev_b32_e32 v2, 30, v20
	v_cndmask_b32_e64 v11, 0x7ff80000, v11, s5
	v_xor_b32_e32 v1, v2, v1
	v_cndmask_b32_e32 v2, v29, v3, vcc_lo
	v_mul_f64 v[6:7], v[6:7], v[10:11]
	v_fma_f64 v[8:9], -v[14:15], v[14:15], v[4:5]
	v_cmp_class_f64_e64 vcc_lo, v[4:5], 0x260
	v_and_b32_e32 v1, 0x80000000, v1
	v_xor_b32_e32 v1, v2, v1
	v_cndmask_b32_e64 v1, 0x7ff80000, v1, s5
	v_fma_f64 v[0:1], v[12:13], v[0:1], v[6:7]
	v_fma_f64 v[2:3], v[8:9], v[26:27], v[14:15]
	v_cndmask_b32_e64 v6, 0, 0xffffff80, s4
	s_mov_b32 s4, 0x33d43651
	s_mov_b32 s5, 0x3fe98845
	v_mul_f64 v[0:1], v[0:1], s[4:5]
	v_ldexp_f64 v[2:3], v[2:3], v6
	v_cndmask_b32_e32 v3, v3, v5, vcc_lo
	v_cndmask_b32_e32 v2, v2, v4, vcc_lo
	v_div_scale_f64 v[4:5], null, v[2:3], v[2:3], v[0:1]
	v_rcp_f64_e32 v[6:7], v[4:5]
	v_fma_f64 v[8:9], -v[4:5], v[6:7], 1.0
	v_fma_f64 v[6:7], v[6:7], v[8:9], v[6:7]
	v_fma_f64 v[8:9], -v[4:5], v[6:7], 1.0
	v_fma_f64 v[6:7], v[6:7], v[8:9], v[6:7]
	v_div_scale_f64 v[8:9], vcc_lo, v[0:1], v[2:3], v[0:1]
	v_mul_f64 v[10:11], v[8:9], v[6:7]
	v_fma_f64 v[4:5], -v[4:5], v[10:11], v[8:9]
	v_div_fmas_f64 v[4:5], v[4:5], v[6:7], v[10:11]
	v_div_fixup_f64 v[0:1], v[4:5], v[2:3], v[0:1]
.LBB10_130:
	s_or_b32 exec_lo, exec_lo, s17
	s_or_b32 exec_lo, exec_lo, s16
	s_setpc_b64 s[30:31]
.Lfunc_end10:
	.size	_ZN2at6native6invokeIZZZNS0_12_GLOBAL__N_121bessel_y1_kernel_cudaERNS_18TensorIteratorBaseEENKUlvE_clEvENKUlvE_clEvEUldE_j15function_traitsIS7_EEENT1_11result_typeERKT_PrKPcPKT0_PKN3c1010ScalarTypeEi, .Lfunc_end10-_ZN2at6native6invokeIZZZNS0_12_GLOBAL__N_121bessel_y1_kernel_cudaERNS_18TensorIteratorBaseEENKUlvE_clEvENKUlvE_clEvEUldE_j15function_traitsIS7_EEENT1_11result_typeERKT_PrKPcPKT0_PKN3c1010ScalarTypeEi
                                        ; -- End function
	.set .L_ZN2at6native6invokeIZZZNS0_12_GLOBAL__N_121bessel_y1_kernel_cudaERNS_18TensorIteratorBaseEENKUlvE_clEvENKUlvE_clEvEUldE_j15function_traitsIS7_EEENT1_11result_typeERKT_PrKPcPKT0_PKN3c1010ScalarTypeEi.num_vgpr, 84
	.set .L_ZN2at6native6invokeIZZZNS0_12_GLOBAL__N_121bessel_y1_kernel_cudaERNS_18TensorIteratorBaseEENKUlvE_clEvENKUlvE_clEvEUldE_j15function_traitsIS7_EEENT1_11result_typeERKT_PrKPcPKT0_PKN3c1010ScalarTypeEi.num_agpr, 0
	.set .L_ZN2at6native6invokeIZZZNS0_12_GLOBAL__N_121bessel_y1_kernel_cudaERNS_18TensorIteratorBaseEENKUlvE_clEvENKUlvE_clEvEUldE_j15function_traitsIS7_EEENT1_11result_typeERKT_PrKPcPKT0_PKN3c1010ScalarTypeEi.numbered_sgpr, 32
	.set .L_ZN2at6native6invokeIZZZNS0_12_GLOBAL__N_121bessel_y1_kernel_cudaERNS_18TensorIteratorBaseEENKUlvE_clEvENKUlvE_clEvEUldE_j15function_traitsIS7_EEENT1_11result_typeERKT_PrKPcPKT0_PKN3c1010ScalarTypeEi.num_named_barrier, 0
	.set .L_ZN2at6native6invokeIZZZNS0_12_GLOBAL__N_121bessel_y1_kernel_cudaERNS_18TensorIteratorBaseEENKUlvE_clEvENKUlvE_clEvEUldE_j15function_traitsIS7_EEENT1_11result_typeERKT_PrKPcPKT0_PKN3c1010ScalarTypeEi.private_seg_size, 0
	.set .L_ZN2at6native6invokeIZZZNS0_12_GLOBAL__N_121bessel_y1_kernel_cudaERNS_18TensorIteratorBaseEENKUlvE_clEvENKUlvE_clEvEUldE_j15function_traitsIS7_EEENT1_11result_typeERKT_PrKPcPKT0_PKN3c1010ScalarTypeEi.uses_vcc, 1
	.set .L_ZN2at6native6invokeIZZZNS0_12_GLOBAL__N_121bessel_y1_kernel_cudaERNS_18TensorIteratorBaseEENKUlvE_clEvENKUlvE_clEvEUldE_j15function_traitsIS7_EEENT1_11result_typeERKT_PrKPcPKT0_PKN3c1010ScalarTypeEi.uses_flat_scratch, 0
	.set .L_ZN2at6native6invokeIZZZNS0_12_GLOBAL__N_121bessel_y1_kernel_cudaERNS_18TensorIteratorBaseEENKUlvE_clEvENKUlvE_clEvEUldE_j15function_traitsIS7_EEENT1_11result_typeERKT_PrKPcPKT0_PKN3c1010ScalarTypeEi.has_dyn_sized_stack, 0
	.set .L_ZN2at6native6invokeIZZZNS0_12_GLOBAL__N_121bessel_y1_kernel_cudaERNS_18TensorIteratorBaseEENKUlvE_clEvENKUlvE_clEvEUldE_j15function_traitsIS7_EEENT1_11result_typeERKT_PrKPcPKT0_PKN3c1010ScalarTypeEi.has_recursion, 0
	.set .L_ZN2at6native6invokeIZZZNS0_12_GLOBAL__N_121bessel_y1_kernel_cudaERNS_18TensorIteratorBaseEENKUlvE_clEvENKUlvE_clEvEUldE_j15function_traitsIS7_EEENT1_11result_typeERKT_PrKPcPKT0_PKN3c1010ScalarTypeEi.has_indirect_call, 0
	.section	.AMDGPU.csdata,"",@progbits
; Function info:
; codeLenInByte = 7776
; TotalNumSgprs: 34
; NumVgprs: 84
; ScratchSize: 0
; MemoryBound: 1
	.section	.text._ZN2at6native32elementwise_kernel_manual_unrollILi128ELi4EZNS0_15gpu_kernel_implIZZZNS0_12_GLOBAL__N_121bessel_y1_kernel_cudaERNS_18TensorIteratorBaseEENKUlvE_clEvENKUlvE_clEvEUldE_EEvS5_RKT_EUlibE0_EEviT1_,"axG",@progbits,_ZN2at6native32elementwise_kernel_manual_unrollILi128ELi4EZNS0_15gpu_kernel_implIZZZNS0_12_GLOBAL__N_121bessel_y1_kernel_cudaERNS_18TensorIteratorBaseEENKUlvE_clEvENKUlvE_clEvEUldE_EEvS5_RKT_EUlibE0_EEviT1_,comdat
	.globl	_ZN2at6native32elementwise_kernel_manual_unrollILi128ELi4EZNS0_15gpu_kernel_implIZZZNS0_12_GLOBAL__N_121bessel_y1_kernel_cudaERNS_18TensorIteratorBaseEENKUlvE_clEvENKUlvE_clEvEUldE_EEvS5_RKT_EUlibE0_EEviT1_ ; -- Begin function _ZN2at6native32elementwise_kernel_manual_unrollILi128ELi4EZNS0_15gpu_kernel_implIZZZNS0_12_GLOBAL__N_121bessel_y1_kernel_cudaERNS_18TensorIteratorBaseEENKUlvE_clEvENKUlvE_clEvEUldE_EEvS5_RKT_EUlibE0_EEviT1_
	.p2align	8
	.type	_ZN2at6native32elementwise_kernel_manual_unrollILi128ELi4EZNS0_15gpu_kernel_implIZZZNS0_12_GLOBAL__N_121bessel_y1_kernel_cudaERNS_18TensorIteratorBaseEENKUlvE_clEvENKUlvE_clEvEUldE_EEvS5_RKT_EUlibE0_EEviT1_,@function
_ZN2at6native32elementwise_kernel_manual_unrollILi128ELi4EZNS0_15gpu_kernel_implIZZZNS0_12_GLOBAL__N_121bessel_y1_kernel_cudaERNS_18TensorIteratorBaseEENKUlvE_clEvENKUlvE_clEvEUldE_EEvS5_RKT_EUlibE0_EEviT1_: ; @_ZN2at6native32elementwise_kernel_manual_unrollILi128ELi4EZNS0_15gpu_kernel_implIZZZNS0_12_GLOBAL__N_121bessel_y1_kernel_cudaERNS_18TensorIteratorBaseEENKUlvE_clEvENKUlvE_clEvEUldE_EEvS5_RKT_EUlibE0_EEviT1_
; %bb.0:
	s_clause 0x1
	s_load_dword s33, s[4:5], 0x8
	s_load_dword s56, s[4:5], 0x0
	v_lshl_or_b32 v43, s6, 9, v0
	s_add_u32 s0, s0, s7
	s_mov_b64 s[26:27], s[4:5]
	s_addc_u32 s1, s1, 0
	s_add_u32 s28, s26, 8
	s_addc_u32 s29, s27, 0
	v_or_b32_e32 v6, 0x180, v43
	s_mov_b32 s4, -1
	s_mov_b32 s51, 0
	s_mov_b32 s34, 0
	;; [unrolled: 1-line block ×3, first 2 shown]
	s_mov_b32 s5, exec_lo
	s_waitcnt lgkmcnt(0)
	s_add_i32 s50, s33, -1
	s_cmp_gt_u32 s50, 1
	s_cselect_b32 s52, -1, 0
	v_cmpx_le_i32_e64 s56, v6
	s_xor_b32 s53, exec_lo, s5
	s_cbranch_execz .LBB11_570
; %bb.1:
	v_mov_b32_e32 v0, 0
	s_clause 0x3
	s_load_dwordx4 s[44:47], s[28:29], 0x4
	s_load_dwordx2 s[34:35], s[28:29], 0x14
	s_load_dwordx4 s[40:43], s[28:29], 0xc4
	s_load_dwordx4 s[36:39], s[28:29], 0x148
	v_mov_b32_e32 v1, 8
	s_cmp_lg_u32 s33, 0
	s_mov_b32 s61, 0
	global_load_ushort v0, v0, s[28:29] offset:345
	s_cselect_b32 s58, -1, 0
	s_add_u32 s48, s28, 0xc4
	s_addc_u32 s49, s29, 0
	s_min_u32 s57, s50, 15
	s_cmp_gt_u32 s33, 1
	s_mov_b32 s59, 0
	s_cselect_b32 s55, -1, 0
	s_mov_b32 s60, exec_lo
	s_waitcnt vmcnt(0)
	v_readfirstlane_b32 s54, v0
	v_lshrrev_b32_sdwa v40, v1, v0 dst_sel:DWORD dst_unused:UNUSED_PAD src0_sel:DWORD src1_sel:WORD_0
	v_cmpx_gt_i32_e64 s56, v43
                                        ; implicit-def: $vgpr2_vgpr3
	s_cbranch_execz .LBB11_138
; %bb.2:
	s_andn2_b32 vcc_lo, exec_lo, s52
	s_cbranch_vccnz .LBB11_7
; %bb.3:
	s_andn2_b32 vcc_lo, exec_lo, s58
	s_cbranch_vccnz .LBB11_8
; %bb.4:
	s_add_i32 s9, s57, 1
	s_cmp_eq_u32 s50, 2
	s_cbranch_scc1 .LBB11_9
; %bb.5:
	v_mov_b32_e32 v2, 0
	v_mov_b32_e32 v41, 0
	v_mov_b32_e32 v0, v43
	s_and_b32 s8, s9, 28
	s_mov_b32 s10, 0
	s_mov_b64 s[4:5], s[28:29]
	s_mov_b64 s[6:7], s[48:49]
.LBB11_6:                               ; =>This Inner Loop Header: Depth=1
	s_clause 0x1
	s_load_dwordx8 s[12:19], s[4:5], 0x4
	s_load_dwordx4 s[20:23], s[4:5], 0x24
	s_load_dwordx8 s[64:71], s[6:7], 0x0
	s_add_u32 s4, s4, 48
	s_addc_u32 s5, s5, 0
	s_add_i32 s10, s10, 4
	s_add_u32 s6, s6, 32
	s_addc_u32 s7, s7, 0
	s_cmp_lg_u32 s8, s10
	s_waitcnt lgkmcnt(0)
	v_mul_hi_u32 v1, s13, v0
	v_add_nc_u32_e32 v1, v0, v1
	v_lshrrev_b32_e32 v1, s14, v1
	v_mul_hi_u32 v3, s16, v1
	v_mul_lo_u32 v5, v1, s12
	v_add_nc_u32_e32 v3, v1, v3
	v_sub_nc_u32_e32 v0, v0, v5
	v_lshrrev_b32_e32 v3, s17, v3
	v_mul_lo_u32 v5, v0, s64
	v_mul_lo_u32 v7, v0, s65
	v_mul_hi_u32 v4, s19, v3
	v_add_nc_u32_e32 v4, v3, v4
	v_lshrrev_b32_e32 v4, s20, v4
	v_mul_hi_u32 v6, s22, v4
	v_mul_lo_u32 v8, v4, s18
	v_add_nc_u32_e32 v0, v4, v6
	v_mul_lo_u32 v6, v3, s15
	v_sub_nc_u32_e32 v3, v3, v8
	v_lshrrev_b32_e32 v0, s23, v0
	v_mul_lo_u32 v8, v3, s68
	v_mul_lo_u32 v3, v3, s69
	v_sub_nc_u32_e32 v1, v1, v6
	v_mul_lo_u32 v9, v0, s21
	v_mul_lo_u32 v6, v1, s66
	;; [unrolled: 1-line block ×3, first 2 shown]
	v_sub_nc_u32_e32 v4, v4, v9
	v_add3_u32 v5, v5, v41, v6
	v_mul_lo_u32 v9, v4, s70
	v_mul_lo_u32 v4, v4, s71
	v_add3_u32 v1, v7, v2, v1
	v_add3_u32 v41, v8, v5, v9
	;; [unrolled: 1-line block ×3, first 2 shown]
	s_cbranch_scc1 .LBB11_6
	s_branch .LBB11_10
.LBB11_7:
                                        ; implicit-def: $vgpr41
                                        ; implicit-def: $vgpr2
	s_andn2_b32 vcc_lo, exec_lo, s4
	s_cbranch_vccz .LBB11_14
	s_branch .LBB11_16
.LBB11_8:
	v_mov_b32_e32 v41, 0
	v_mov_b32_e32 v2, 0
	s_branch .LBB11_13
.LBB11_9:
	v_mov_b32_e32 v41, 0
	v_mov_b32_e32 v2, 0
	;; [unrolled: 1-line block ×3, first 2 shown]
	s_mov_b32 s8, 0
.LBB11_10:
	s_and_b32 s9, s9, 3
	s_cmp_eq_u32 s9, 0
	s_cbranch_scc1 .LBB11_13
; %bb.11:
	s_lshl_b32 s4, s8, 3
	s_mul_i32 s6, s8, 12
	s_add_u32 s4, s28, s4
	s_addc_u32 s5, s29, 0
	s_add_u32 s4, s4, 0xc4
	s_addc_u32 s5, s5, 0
	;; [unrolled: 2-line block ×3, first 2 shown]
	.p2align	6
.LBB11_12:                              ; =>This Inner Loop Header: Depth=1
	s_clause 0x1
	s_load_dwordx2 s[10:11], s[6:7], 0x4
	s_load_dword s8, s[6:7], 0xc
	s_load_dwordx2 s[12:13], s[4:5], 0x0
	s_add_u32 s6, s6, 12
	s_addc_u32 s7, s7, 0
	s_add_u32 s4, s4, 8
	s_addc_u32 s5, s5, 0
	s_add_i32 s9, s9, -1
	s_cmp_lg_u32 s9, 0
	s_waitcnt lgkmcnt(0)
	v_mul_hi_u32 v1, s11, v0
	v_add_nc_u32_e32 v1, v0, v1
	v_lshrrev_b32_e32 v1, s8, v1
	v_mul_lo_u32 v3, v1, s10
	v_sub_nc_u32_e32 v0, v0, v3
	v_mad_u64_u32 v[41:42], null, v0, s12, v[41:42]
	v_mad_u64_u32 v[2:3], null, v0, s13, v[2:3]
	v_mov_b32_e32 v0, v1
	s_cbranch_scc1 .LBB11_12
.LBB11_13:
	s_cbranch_execnz .LBB11_16
.LBB11_14:
	s_waitcnt lgkmcnt(0)
	v_mul_hi_u32 v0, s45, v43
	s_andn2_b32 vcc_lo, exec_lo, s55
	v_add_nc_u32_e32 v0, v43, v0
	v_lshrrev_b32_e32 v0, s46, v0
	v_mul_lo_u32 v1, v0, s44
	v_sub_nc_u32_e32 v1, v43, v1
	v_mul_lo_u32 v41, v1, s40
	v_mul_lo_u32 v2, v1, s41
	s_cbranch_vccnz .LBB11_16
; %bb.15:
	v_mul_hi_u32 v1, s34, v0
	v_add_nc_u32_e32 v1, v0, v1
	v_lshrrev_b32_e32 v1, s35, v1
	v_mul_lo_u32 v1, v1, s47
	v_sub_nc_u32_e32 v0, v0, v1
	v_mad_u64_u32 v[41:42], null, v0, s42, v[41:42]
	v_mad_u64_u32 v[2:3], null, v0, s43, v[2:3]
.LBB11_16:
	s_waitcnt lgkmcnt(0)
	v_mov_b32_e32 v0, s38
	v_mov_b32_e32 v1, s39
	;; [unrolled: 1-line block ×3, first 2 shown]
	s_getpc_b64 s[4:5]
	s_add_u32 s4, s4, _ZN2at6native6invokeIZZZNS0_12_GLOBAL__N_121bessel_y1_kernel_cudaERNS_18TensorIteratorBaseEENKUlvE_clEvENKUlvE_clEvEUldE_j15function_traitsIS7_EEENT1_11result_typeERKT_PrKPcPKT0_PKN3c1010ScalarTypeEi@rel32@lo+4
	s_addc_u32 s5, s5, _ZN2at6native6invokeIZZZNS0_12_GLOBAL__N_121bessel_y1_kernel_cudaERNS_18TensorIteratorBaseEENKUlvE_clEvENKUlvE_clEvEUldE_j15function_traitsIS7_EEENT1_11result_typeERKT_PrKPcPKT0_PKN3c1010ScalarTypeEi@rel32@hi+12
	s_swappc_b64 s[30:31], s[4:5]
	v_add_co_u32 v4, s4, s36, v41
	v_add_co_ci_u32_e64 v5, null, s37, 0, s4
	s_and_b32 s5, s54, 0xff
	s_cmp_lt_i32 s5, 11
	s_cbranch_scc1 .LBB11_23
; %bb.17:
	s_and_b32 s6, 0xffff, s5
	s_cmp_gt_i32 s6, 25
	s_cbranch_scc0 .LBB11_26
; %bb.18:
	s_cmp_gt_i32 s6, 28
	s_cbranch_scc0 .LBB11_27
; %bb.19:
	;; [unrolled: 3-line block ×4, first 2 shown]
	s_mov_b32 s8, 0
	s_mov_b32 s4, -1
	s_cmp_eq_u32 s6, 46
	s_mov_b32 s7, 0
	s_cbranch_scc0 .LBB11_30
; %bb.22:
	v_cvt_f32_f64_e32 v2, v[0:1]
	s_mov_b32 s7, -1
	s_mov_b32 s4, 0
	v_bfe_u32 v3, v2, 16, 1
	v_cmp_o_f32_e32 vcc_lo, v2, v2
	v_add3_u32 v2, v2, v3, 0x7fff
	v_mov_b32_e32 v3, 0x7fc0
	v_cndmask_b32_sdwa v2, v3, v2, vcc_lo dst_sel:DWORD dst_unused:UNUSED_PAD src0_sel:DWORD src1_sel:WORD_1
	global_store_dword v[4:5], v2, off
	s_branch .LBB11_30
.LBB11_23:
	s_mov_b32 s4, 0
	s_mov_b32 s7, 0
	s_cbranch_execnz .LBB11_98
.LBB11_24:
	s_andn2_b32 vcc_lo, exec_lo, s7
	s_cbranch_vccnz .LBB11_136
.LBB11_25:
	v_add_nc_u32_e32 v43, 0x80, v43
	s_mov_b32 s5, -1
	s_branch .LBB11_137
.LBB11_26:
	s_mov_b32 s4, 0
	s_mov_b32 s7, 0
	s_cbranch_execnz .LBB11_57
	s_branch .LBB11_97
.LBB11_27:
	s_mov_b32 s8, -1
	s_mov_b32 s4, 0
	s_mov_b32 s7, 0
	s_branch .LBB11_40
.LBB11_28:
	s_mov_b32 s8, -1
	s_mov_b32 s4, 0
	s_mov_b32 s7, 0
	s_branch .LBB11_36
.LBB11_29:
	s_mov_b32 s8, -1
	s_mov_b32 s4, 0
	s_mov_b32 s7, 0
.LBB11_30:
	s_and_b32 vcc_lo, exec_lo, s8
	s_cbranch_vccz .LBB11_35
; %bb.31:
	s_cmp_eq_u32 s6, 44
	s_mov_b32 s4, -1
	s_cbranch_scc0 .LBB11_35
; %bb.32:
	v_cvt_f32_f64_e32 v2, v[0:1]
	v_mov_b32_e32 v3, 0xff
	s_mov_b32 s7, exec_lo
	v_bfe_u32 v6, v2, 23, 8
	v_cmpx_ne_u32_e32 0xff, v6
	s_cbranch_execz .LBB11_34
; %bb.33:
	v_and_b32_e32 v3, 0x400000, v2
	v_and_or_b32 v6, 0x3fffff, v2, v6
	v_lshrrev_b32_e32 v2, 23, v2
	v_cmp_ne_u32_e32 vcc_lo, 0, v3
	v_cmp_ne_u32_e64 s4, 0, v6
	s_and_b32 s4, vcc_lo, s4
	v_cndmask_b32_e64 v3, 0, 1, s4
	v_add_nc_u32_e32 v3, v2, v3
.LBB11_34:
	s_or_b32 exec_lo, exec_lo, s7
	s_mov_b32 s7, -1
	s_mov_b32 s4, 0
	global_store_byte v[4:5], v3, off
.LBB11_35:
	s_mov_b32 s8, 0
.LBB11_36:
	s_and_b32 vcc_lo, exec_lo, s8
	s_cbranch_vccz .LBB11_39
; %bb.37:
	s_cmp_eq_u32 s6, 29
	s_mov_b32 s4, -1
	s_cbranch_scc0 .LBB11_39
; %bb.38:
	v_trunc_f64_e32 v[2:3], v[0:1]
	s_mov_b32 s7, -1
	s_mov_b32 s4, 0
	s_mov_b32 s8, 0
	v_ldexp_f64 v[6:7], v[2:3], 0xffffffe0
	v_floor_f64_e32 v[6:7], v[6:7]
	v_fma_f64 v[2:3], 0xc1f00000, v[6:7], v[2:3]
	v_cvt_u32_f64_e32 v7, v[6:7]
	v_cvt_u32_f64_e32 v6, v[2:3]
	global_store_dwordx2 v[4:5], v[6:7], off
	s_branch .LBB11_40
.LBB11_39:
	s_mov_b32 s8, 0
.LBB11_40:
	s_and_b32 vcc_lo, exec_lo, s8
	s_cbranch_vccz .LBB11_56
; %bb.41:
	s_cmp_lt_i32 s6, 27
	s_mov_b32 s7, -1
	s_cbranch_scc1 .LBB11_47
; %bb.42:
	s_cmp_gt_i32 s6, 27
	s_cbranch_scc0 .LBB11_44
; %bb.43:
	v_cvt_u32_f64_e32 v2, v[0:1]
	s_mov_b32 s7, 0
	global_store_dword v[4:5], v2, off
.LBB11_44:
	s_andn2_b32 vcc_lo, exec_lo, s7
	s_cbranch_vccnz .LBB11_46
; %bb.45:
	v_cvt_u32_f64_e32 v2, v[0:1]
	global_store_short v[4:5], v2, off
.LBB11_46:
	s_mov_b32 s7, 0
.LBB11_47:
	s_andn2_b32 vcc_lo, exec_lo, s7
	s_cbranch_vccnz .LBB11_55
; %bb.48:
	v_cvt_f32_f64_e32 v2, v[0:1]
	v_mov_b32_e32 v6, 0x80
	s_mov_b32 s7, exec_lo
	v_and_b32_e32 v3, 0x7fffffff, v2
	v_cmpx_gt_u32_e32 0x43800000, v3
	s_cbranch_execz .LBB11_54
; %bb.49:
	v_cmp_lt_u32_e32 vcc_lo, 0x3bffffff, v3
	s_mov_b32 s8, 0
                                        ; implicit-def: $vgpr3
	s_and_saveexec_b32 s9, vcc_lo
	s_xor_b32 s9, exec_lo, s9
	s_cbranch_execz .LBB11_169
; %bb.50:
	v_bfe_u32 v3, v2, 20, 1
	s_mov_b32 s8, exec_lo
	v_add3_u32 v3, v2, v3, 0x487ffff
	v_lshrrev_b32_e32 v3, 20, v3
	s_andn2_saveexec_b32 s9, s9
	s_cbranch_execnz .LBB11_170
.LBB11_51:
	s_or_b32 exec_lo, exec_lo, s9
	v_mov_b32_e32 v6, 0
	s_and_saveexec_b32 s9, s8
.LBB11_52:
	v_lshrrev_b32_e32 v2, 24, v2
	v_and_or_b32 v6, 0x80, v2, v3
.LBB11_53:
	s_or_b32 exec_lo, exec_lo, s9
.LBB11_54:
	s_or_b32 exec_lo, exec_lo, s7
	global_store_byte v[4:5], v6, off
.LBB11_55:
	s_mov_b32 s7, -1
.LBB11_56:
	s_branch .LBB11_97
.LBB11_57:
	s_cmp_gt_i32 s6, 22
	s_mov_b32 s8, -1
	s_cbranch_scc0 .LBB11_89
; %bb.58:
	s_cmp_lt_i32 s6, 24
	s_mov_b32 s7, -1
	s_cbranch_scc1 .LBB11_78
; %bb.59:
	s_cmp_gt_i32 s6, 24
	s_cbranch_scc0 .LBB11_67
; %bb.60:
	v_cvt_f32_f64_e32 v2, v[0:1]
	v_mov_b32_e32 v6, 0x80
	s_mov_b32 s7, exec_lo
	v_and_b32_e32 v3, 0x7fffffff, v2
	v_cmpx_gt_u32_e32 0x47800000, v3
	s_cbranch_execz .LBB11_66
; %bb.61:
	v_cmp_lt_u32_e32 vcc_lo, 0x37ffffff, v3
	s_mov_b32 s8, 0
                                        ; implicit-def: $vgpr3
	s_and_saveexec_b32 s9, vcc_lo
	s_xor_b32 s9, exec_lo, s9
	s_cbranch_execz .LBB11_172
; %bb.62:
	v_bfe_u32 v3, v2, 21, 1
	s_mov_b32 s8, exec_lo
	v_add3_u32 v3, v2, v3, 0x88fffff
	v_lshrrev_b32_e32 v3, 21, v3
	s_andn2_saveexec_b32 s9, s9
	s_cbranch_execnz .LBB11_173
.LBB11_63:
	s_or_b32 exec_lo, exec_lo, s9
	v_mov_b32_e32 v6, 0
	s_and_saveexec_b32 s9, s8
.LBB11_64:
	v_lshrrev_b32_e32 v2, 24, v2
	v_and_or_b32 v6, 0x80, v2, v3
.LBB11_65:
	s_or_b32 exec_lo, exec_lo, s9
.LBB11_66:
	s_or_b32 exec_lo, exec_lo, s7
	s_mov_b32 s7, 0
	global_store_byte v[4:5], v6, off
.LBB11_67:
	s_and_b32 vcc_lo, exec_lo, s7
	s_cbranch_vccz .LBB11_77
; %bb.68:
	v_cvt_f32_f64_e32 v2, v[0:1]
	s_mov_b32 s7, exec_lo
                                        ; implicit-def: $vgpr3
	v_and_b32_e32 v6, 0x7fffffff, v2
	v_cmpx_gt_u32_e32 0x43f00000, v6
	s_xor_b32 s7, exec_lo, s7
	s_cbranch_execz .LBB11_74
; %bb.69:
	s_mov_b32 s8, exec_lo
                                        ; implicit-def: $vgpr3
	v_cmpx_lt_u32_e32 0x3c7fffff, v6
	s_xor_b32 s8, exec_lo, s8
; %bb.70:
	v_bfe_u32 v3, v2, 20, 1
	v_add3_u32 v3, v2, v3, 0x407ffff
	v_and_b32_e32 v6, 0xff00000, v3
	v_lshrrev_b32_e32 v3, 20, v3
	v_cmp_ne_u32_e32 vcc_lo, 0x7f00000, v6
	v_cndmask_b32_e32 v3, 0x7e, v3, vcc_lo
; %bb.71:
	s_andn2_saveexec_b32 s8, s8
; %bb.72:
	v_add_f32_e64 v3, 0x46800000, |v2|
; %bb.73:
	s_or_b32 exec_lo, exec_lo, s8
                                        ; implicit-def: $vgpr6
.LBB11_74:
	s_andn2_saveexec_b32 s7, s7
; %bb.75:
	v_mov_b32_e32 v3, 0x7f
	v_cmp_lt_u32_e32 vcc_lo, 0x7f800000, v6
	v_cndmask_b32_e32 v3, 0x7e, v3, vcc_lo
; %bb.76:
	s_or_b32 exec_lo, exec_lo, s7
	v_lshrrev_b32_e32 v2, 24, v2
	v_and_or_b32 v2, 0x80, v2, v3
	global_store_byte v[4:5], v2, off
.LBB11_77:
	s_mov_b32 s7, 0
.LBB11_78:
	s_andn2_b32 vcc_lo, exec_lo, s7
	s_cbranch_vccnz .LBB11_88
; %bb.79:
	v_cvt_f32_f64_e32 v2, v[0:1]
	s_mov_b32 s7, exec_lo
                                        ; implicit-def: $vgpr3
	v_and_b32_e32 v6, 0x7fffffff, v2
	v_cmpx_gt_u32_e32 0x47800000, v6
	s_xor_b32 s7, exec_lo, s7
	s_cbranch_execz .LBB11_85
; %bb.80:
	s_mov_b32 s8, exec_lo
                                        ; implicit-def: $vgpr3
	v_cmpx_lt_u32_e32 0x387fffff, v6
	s_xor_b32 s8, exec_lo, s8
; %bb.81:
	v_bfe_u32 v3, v2, 21, 1
	v_add3_u32 v3, v2, v3, 0x80fffff
	v_lshrrev_b32_e32 v3, 21, v3
; %bb.82:
	s_andn2_saveexec_b32 s8, s8
; %bb.83:
	v_add_f32_e64 v3, 0x43000000, |v2|
; %bb.84:
	s_or_b32 exec_lo, exec_lo, s8
                                        ; implicit-def: $vgpr6
.LBB11_85:
	s_andn2_saveexec_b32 s7, s7
; %bb.86:
	v_mov_b32_e32 v3, 0x7f
	v_cmp_lt_u32_e32 vcc_lo, 0x7f800000, v6
	v_cndmask_b32_e32 v3, 0x7c, v3, vcc_lo
; %bb.87:
	s_or_b32 exec_lo, exec_lo, s7
	v_lshrrev_b32_e32 v2, 24, v2
	v_and_or_b32 v2, 0x80, v2, v3
	global_store_byte v[4:5], v2, off
.LBB11_88:
	s_mov_b32 s8, 0
	s_mov_b32 s7, -1
.LBB11_89:
	s_andn2_b32 vcc_lo, exec_lo, s8
	s_cbranch_vccnz .LBB11_97
; %bb.90:
	s_cmp_gt_i32 s6, 14
	s_mov_b32 s8, -1
	s_cbranch_scc0 .LBB11_94
; %bb.91:
	s_cmp_eq_u32 s6, 15
	s_mov_b32 s4, -1
	s_cbranch_scc0 .LBB11_93
; %bb.92:
	v_cvt_f32_f64_e32 v2, v[0:1]
	s_mov_b32 s7, -1
	s_mov_b32 s4, 0
	v_bfe_u32 v3, v2, 16, 1
	v_cmp_o_f32_e32 vcc_lo, v2, v2
	v_add3_u32 v2, v2, v3, 0x7fff
	v_mov_b32_e32 v3, 0x7fc0
	v_cndmask_b32_sdwa v2, v3, v2, vcc_lo dst_sel:DWORD dst_unused:UNUSED_PAD src0_sel:DWORD src1_sel:WORD_1
	global_store_short v[4:5], v2, off
.LBB11_93:
	s_mov_b32 s8, 0
.LBB11_94:
	s_and_b32 vcc_lo, exec_lo, s8
	s_cbranch_vccz .LBB11_97
; %bb.95:
	s_cmp_eq_u32 s6, 11
	s_mov_b32 s4, -1
	s_cbranch_scc0 .LBB11_97
; %bb.96:
	v_cmp_neq_f64_e32 vcc_lo, 0, v[0:1]
	s_mov_b32 s7, -1
	s_mov_b32 s4, 0
	v_cndmask_b32_e64 v2, 0, 1, vcc_lo
	global_store_byte v[4:5], v2, off
.LBB11_97:
	s_branch .LBB11_24
.LBB11_98:
	s_and_b32 s5, 0xffff, s5
	s_mov_b32 s6, -1
	s_cmp_lt_i32 s5, 5
	s_cbranch_scc1 .LBB11_119
; %bb.99:
	s_cmp_lt_i32 s5, 8
	s_cbranch_scc1 .LBB11_109
; %bb.100:
	;; [unrolled: 3-line block ×3, first 2 shown]
	s_cmp_gt_i32 s5, 9
	s_cbranch_scc0 .LBB11_103
; %bb.102:
	v_mov_b32_e32 v2, 0
	s_mov_b32 s6, 0
	v_mov_b32_e32 v3, v2
	global_store_dwordx4 v[4:5], v[0:3], off
.LBB11_103:
	s_andn2_b32 vcc_lo, exec_lo, s6
	s_cbranch_vccnz .LBB11_105
; %bb.104:
	v_cvt_f32_f64_e32 v2, v[0:1]
	v_mov_b32_e32 v3, 0
	global_store_dwordx2 v[4:5], v[2:3], off
.LBB11_105:
	s_mov_b32 s6, 0
.LBB11_106:
	s_andn2_b32 vcc_lo, exec_lo, s6
	s_cbranch_vccnz .LBB11_108
; %bb.107:
	v_and_or_b32 v2, 0x1ff, v1, v0
	v_lshrrev_b32_e32 v3, 8, v1
	v_bfe_u32 v6, v1, 20, 11
	v_cmp_ne_u32_e32 vcc_lo, 0, v2
	v_sub_nc_u32_e32 v7, 0x3f1, v6
	v_add_nc_u32_e32 v6, 0xfffffc10, v6
	v_cndmask_b32_e64 v2, 0, 1, vcc_lo
	v_and_or_b32 v2, 0xffe, v3, v2
	v_med3_i32 v3, v7, 0, 13
	v_or_b32_e32 v7, 0x1000, v2
	v_lshrrev_b32_e32 v8, v3, v7
	v_lshlrev_b32_e32 v3, v3, v8
	v_cmp_ne_u32_e32 vcc_lo, v3, v7
	v_lshl_or_b32 v7, v6, 12, v2
	v_cndmask_b32_e64 v3, 0, 1, vcc_lo
	v_cmp_gt_i32_e32 vcc_lo, 1, v6
	v_or_b32_e32 v3, v8, v3
	v_cndmask_b32_e32 v3, v7, v3, vcc_lo
	v_and_b32_e32 v7, 7, v3
	v_lshrrev_b32_e32 v3, 2, v3
	v_cmp_lt_i32_e32 vcc_lo, 5, v7
	v_cndmask_b32_e64 v8, 0, 1, vcc_lo
	v_cmp_eq_u32_e32 vcc_lo, 3, v7
	v_cndmask_b32_e64 v7, 0, 1, vcc_lo
	v_cmp_ne_u32_e32 vcc_lo, 0, v2
	v_or_b32_e32 v7, v7, v8
	v_mov_b32_e32 v8, 0x7e00
	v_add_nc_u32_e32 v3, v3, v7
	v_cndmask_b32_e32 v2, 0x7c00, v8, vcc_lo
	v_cmp_gt_i32_e32 vcc_lo, 31, v6
	v_cndmask_b32_e32 v3, 0x7c00, v3, vcc_lo
	v_cmp_eq_u32_e32 vcc_lo, 0x40f, v6
	v_cndmask_b32_e32 v2, v3, v2, vcc_lo
	v_lshrrev_b32_e32 v3, 16, v1
	v_and_or_b32 v2, 0x8000, v3, v2
	v_and_b32_e32 v2, 0xffff, v2
	global_store_dword v[4:5], v2, off
.LBB11_108:
	s_mov_b32 s6, 0
.LBB11_109:
	s_andn2_b32 vcc_lo, exec_lo, s6
	s_cbranch_vccnz .LBB11_118
; %bb.110:
	s_cmp_lt_i32 s5, 6
	s_mov_b32 s6, -1
	s_cbranch_scc1 .LBB11_116
; %bb.111:
	s_cmp_gt_i32 s5, 6
	s_cbranch_scc0 .LBB11_113
; %bb.112:
	s_mov_b32 s6, 0
	global_store_dwordx2 v[4:5], v[0:1], off
.LBB11_113:
	s_andn2_b32 vcc_lo, exec_lo, s6
	s_cbranch_vccnz .LBB11_115
; %bb.114:
	v_cvt_f32_f64_e32 v2, v[0:1]
	global_store_dword v[4:5], v2, off
.LBB11_115:
	s_mov_b32 s6, 0
.LBB11_116:
	s_andn2_b32 vcc_lo, exec_lo, s6
	s_cbranch_vccnz .LBB11_118
; %bb.117:
	v_and_or_b32 v2, 0x1ff, v1, v0
	v_lshrrev_b32_e32 v3, 8, v1
	v_bfe_u32 v6, v1, 20, 11
	v_cmp_ne_u32_e32 vcc_lo, 0, v2
	v_sub_nc_u32_e32 v7, 0x3f1, v6
	v_add_nc_u32_e32 v6, 0xfffffc10, v6
	v_cndmask_b32_e64 v2, 0, 1, vcc_lo
	v_and_or_b32 v2, 0xffe, v3, v2
	v_med3_i32 v3, v7, 0, 13
	v_or_b32_e32 v7, 0x1000, v2
	v_lshrrev_b32_e32 v8, v3, v7
	v_lshlrev_b32_e32 v3, v3, v8
	v_cmp_ne_u32_e32 vcc_lo, v3, v7
	v_lshl_or_b32 v7, v6, 12, v2
	v_cndmask_b32_e64 v3, 0, 1, vcc_lo
	v_cmp_gt_i32_e32 vcc_lo, 1, v6
	v_or_b32_e32 v3, v8, v3
	v_cndmask_b32_e32 v3, v7, v3, vcc_lo
	v_and_b32_e32 v7, 7, v3
	v_lshrrev_b32_e32 v3, 2, v3
	v_cmp_lt_i32_e32 vcc_lo, 5, v7
	v_cndmask_b32_e64 v8, 0, 1, vcc_lo
	v_cmp_eq_u32_e32 vcc_lo, 3, v7
	v_cndmask_b32_e64 v7, 0, 1, vcc_lo
	v_cmp_ne_u32_e32 vcc_lo, 0, v2
	v_or_b32_e32 v7, v7, v8
	v_mov_b32_e32 v8, 0x7e00
	v_add_nc_u32_e32 v3, v3, v7
	v_cndmask_b32_e32 v2, 0x7c00, v8, vcc_lo
	v_cmp_gt_i32_e32 vcc_lo, 31, v6
	v_cndmask_b32_e32 v3, 0x7c00, v3, vcc_lo
	v_cmp_eq_u32_e32 vcc_lo, 0x40f, v6
	v_cndmask_b32_e32 v2, v3, v2, vcc_lo
	v_lshrrev_b32_e32 v3, 16, v1
	v_and_or_b32 v2, 0x8000, v3, v2
	global_store_short v[4:5], v2, off
.LBB11_118:
	s_mov_b32 s6, 0
.LBB11_119:
	s_andn2_b32 vcc_lo, exec_lo, s6
	s_cbranch_vccnz .LBB11_135
; %bb.120:
	s_cmp_lt_i32 s5, 2
	s_mov_b32 s6, -1
	s_cbranch_scc1 .LBB11_130
; %bb.121:
	s_cmp_lt_i32 s5, 3
	s_cbranch_scc1 .LBB11_127
; %bb.122:
	s_cmp_gt_i32 s5, 3
	s_cbranch_scc0 .LBB11_124
; %bb.123:
	v_trunc_f64_e32 v[2:3], v[0:1]
	s_mov_b32 s6, 0
	v_ldexp_f64 v[6:7], v[2:3], 0xffffffe0
	v_floor_f64_e32 v[6:7], v[6:7]
	v_fma_f64 v[2:3], 0xc1f00000, v[6:7], v[2:3]
	v_cvt_i32_f64_e32 v7, v[6:7]
	v_cvt_u32_f64_e32 v6, v[2:3]
	global_store_dwordx2 v[4:5], v[6:7], off
.LBB11_124:
	s_andn2_b32 vcc_lo, exec_lo, s6
	s_cbranch_vccnz .LBB11_126
; %bb.125:
	v_cvt_i32_f64_e32 v2, v[0:1]
	global_store_dword v[4:5], v2, off
.LBB11_126:
	s_mov_b32 s6, 0
.LBB11_127:
	s_andn2_b32 vcc_lo, exec_lo, s6
	s_cbranch_vccnz .LBB11_129
; %bb.128:
	v_cvt_i32_f64_e32 v2, v[0:1]
	global_store_short v[4:5], v2, off
.LBB11_129:
	s_mov_b32 s6, 0
.LBB11_130:
	s_andn2_b32 vcc_lo, exec_lo, s6
	s_cbranch_vccnz .LBB11_135
; %bb.131:
	s_cmp_gt_i32 s5, 0
	s_mov_b32 s5, -1
	s_cbranch_scc0 .LBB11_133
; %bb.132:
	v_cvt_i32_f64_e32 v2, v[0:1]
	s_mov_b32 s5, 0
	global_store_byte v[4:5], v2, off
.LBB11_133:
	s_andn2_b32 vcc_lo, exec_lo, s5
	s_cbranch_vccnz .LBB11_135
; %bb.134:
	v_trunc_f64_e32 v[0:1], v[0:1]
	v_ldexp_f64 v[2:3], v[0:1], 0xffffffe0
	v_floor_f64_e32 v[2:3], v[2:3]
	v_fma_f64 v[0:1], 0xc1f00000, v[2:3], v[0:1]
	v_cvt_u32_f64_e32 v0, v[0:1]
	global_store_byte v[4:5], v0, off
.LBB11_135:
	s_branch .LBB11_25
.LBB11_136:
	s_mov_b32 s5, 0
                                        ; implicit-def: $vgpr43
.LBB11_137:
	s_and_b32 s59, s4, exec_lo
	s_orn2_b32 s4, s5, exec_lo
.LBB11_138:
	s_or_b32 exec_lo, exec_lo, s60
	s_mov_b32 s6, 0
                                        ; implicit-def: $sgpr5
                                        ; implicit-def: $vgpr4_vgpr5
                                        ; implicit-def: $vgpr0_vgpr1
	s_and_saveexec_b32 s60, s4
	s_cbranch_execz .LBB11_145
; %bb.139:
	s_mov_b32 s7, -1
	s_mov_b32 s61, s59
	s_mov_b32 s62, exec_lo
	v_cmpx_gt_i32_e64 s56, v43
	s_cbranch_execz .LBB11_284
; %bb.140:
	s_andn2_b32 vcc_lo, exec_lo, s52
	s_cbranch_vccnz .LBB11_148
; %bb.141:
	s_andn2_b32 vcc_lo, exec_lo, s58
	s_cbranch_vccnz .LBB11_149
; %bb.142:
	s_add_i32 s9, s57, 1
	s_cmp_eq_u32 s50, 2
	s_cbranch_scc1 .LBB11_150
; %bb.143:
	v_mov_b32_e32 v2, 0
	v_mov_b32_e32 v41, 0
	;; [unrolled: 1-line block ×3, first 2 shown]
	s_and_b32 s8, s9, 28
	s_mov_b32 s10, 0
	s_mov_b64 s[4:5], s[28:29]
	s_mov_b64 s[6:7], s[48:49]
.LBB11_144:                             ; =>This Inner Loop Header: Depth=1
	s_clause 0x1
	s_load_dwordx8 s[12:19], s[4:5], 0x4
	s_load_dwordx4 s[20:23], s[4:5], 0x24
	s_load_dwordx8 s[64:71], s[6:7], 0x0
	s_add_u32 s4, s4, 48
	s_addc_u32 s5, s5, 0
	s_add_i32 s10, s10, 4
	s_add_u32 s6, s6, 32
	s_addc_u32 s7, s7, 0
	s_cmp_eq_u32 s8, s10
	s_waitcnt lgkmcnt(0)
	v_mul_hi_u32 v1, s13, v0
	v_add_nc_u32_e32 v1, v0, v1
	v_lshrrev_b32_e32 v1, s14, v1
	v_mul_hi_u32 v3, s16, v1
	v_mul_lo_u32 v5, v1, s12
	v_add_nc_u32_e32 v3, v1, v3
	v_sub_nc_u32_e32 v0, v0, v5
	v_lshrrev_b32_e32 v3, s17, v3
	v_mul_lo_u32 v5, v0, s64
	v_mul_lo_u32 v7, v0, s65
	v_mul_hi_u32 v4, s19, v3
	v_add_nc_u32_e32 v4, v3, v4
	v_lshrrev_b32_e32 v4, s20, v4
	v_mul_hi_u32 v6, s22, v4
	v_mul_lo_u32 v8, v4, s18
	v_add_nc_u32_e32 v0, v4, v6
	v_mul_lo_u32 v6, v3, s15
	v_sub_nc_u32_e32 v3, v3, v8
	v_lshrrev_b32_e32 v0, s23, v0
	v_mul_lo_u32 v8, v3, s68
	v_mul_lo_u32 v3, v3, s69
	v_sub_nc_u32_e32 v1, v1, v6
	v_mul_lo_u32 v9, v0, s21
	v_mul_lo_u32 v6, v1, s66
	;; [unrolled: 1-line block ×3, first 2 shown]
	v_sub_nc_u32_e32 v4, v4, v9
	v_add3_u32 v5, v5, v41, v6
	v_mul_lo_u32 v9, v4, s70
	v_mul_lo_u32 v4, v4, s71
	v_add3_u32 v1, v7, v2, v1
	v_add3_u32 v41, v8, v5, v9
	v_add3_u32 v2, v3, v1, v4
	s_cbranch_scc0 .LBB11_144
	s_branch .LBB11_151
.LBB11_145:
	s_or_b32 exec_lo, exec_lo, s60
	s_mov_b32 s4, 0
	s_and_saveexec_b32 s7, s59
	s_cbranch_execnz .LBB11_530
.LBB11_146:
	s_or_b32 exec_lo, exec_lo, s7
	s_and_saveexec_b32 s7, s61
	s_xor_b32 s7, exec_lo, s7
	s_cbranch_execz .LBB11_531
.LBB11_147:
	v_cmp_neq_f64_e32 vcc_lo, 0, v[0:1]
	v_cndmask_b32_e64 v2, 0, 1, vcc_lo
	global_store_byte v[4:5], v2, off
	s_or_b32 exec_lo, exec_lo, s7
	s_and_saveexec_b32 s7, s6
	s_xor_b32 s6, exec_lo, s7
	s_cbranch_execz .LBB11_569
	s_branch .LBB11_532
.LBB11_148:
                                        ; implicit-def: $vgpr41
                                        ; implicit-def: $vgpr2
	s_branch .LBB11_155
.LBB11_149:
	v_mov_b32_e32 v41, 0
	v_mov_b32_e32 v2, 0
	s_branch .LBB11_154
.LBB11_150:
	v_mov_b32_e32 v41, 0
	v_mov_b32_e32 v2, 0
	;; [unrolled: 1-line block ×3, first 2 shown]
	s_mov_b32 s8, 0
.LBB11_151:
	s_and_b32 s9, s9, 3
	s_cmp_eq_u32 s9, 0
	s_cbranch_scc1 .LBB11_154
; %bb.152:
	s_lshl_b32 s4, s8, 3
	s_mul_i32 s6, s8, 12
	s_add_u32 s4, s28, s4
	s_addc_u32 s5, s29, 0
	s_add_u32 s4, s4, 0xc4
	s_addc_u32 s5, s5, 0
	;; [unrolled: 2-line block ×3, first 2 shown]
	.p2align	6
.LBB11_153:                             ; =>This Inner Loop Header: Depth=1
	s_clause 0x1
	s_load_dwordx2 s[10:11], s[6:7], 0x4
	s_load_dword s8, s[6:7], 0xc
	s_load_dwordx2 s[12:13], s[4:5], 0x0
	s_add_u32 s6, s6, 12
	s_addc_u32 s7, s7, 0
	s_add_u32 s4, s4, 8
	s_addc_u32 s5, s5, 0
	s_add_i32 s9, s9, -1
	s_cmp_lg_u32 s9, 0
	s_waitcnt lgkmcnt(0)
	v_mul_hi_u32 v1, s11, v0
	v_add_nc_u32_e32 v1, v0, v1
	v_lshrrev_b32_e32 v1, s8, v1
	v_mul_lo_u32 v3, v1, s10
	v_sub_nc_u32_e32 v0, v0, v3
	v_mad_u64_u32 v[41:42], null, v0, s12, v[41:42]
	v_mad_u64_u32 v[2:3], null, v0, s13, v[2:3]
	v_mov_b32_e32 v0, v1
	s_cbranch_scc1 .LBB11_153
.LBB11_154:
	s_cbranch_execnz .LBB11_157
.LBB11_155:
	s_waitcnt lgkmcnt(0)
	v_mul_hi_u32 v0, s45, v43
	s_andn2_b32 vcc_lo, exec_lo, s55
	v_add_nc_u32_e32 v0, v43, v0
	v_lshrrev_b32_e32 v0, s46, v0
	v_mul_lo_u32 v1, v0, s44
	v_sub_nc_u32_e32 v1, v43, v1
	v_mul_lo_u32 v41, v1, s40
	v_mul_lo_u32 v2, v1, s41
	s_cbranch_vccnz .LBB11_157
; %bb.156:
	v_mul_hi_u32 v1, s34, v0
	v_add_nc_u32_e32 v1, v0, v1
	v_lshrrev_b32_e32 v1, s35, v1
	v_mul_lo_u32 v1, v1, s47
	v_sub_nc_u32_e32 v0, v0, v1
	v_mad_u64_u32 v[41:42], null, v0, s42, v[41:42]
	v_mad_u64_u32 v[2:3], null, v0, s43, v[2:3]
.LBB11_157:
	s_waitcnt lgkmcnt(0)
	v_mov_b32_e32 v0, s38
	v_mov_b32_e32 v1, s39
	;; [unrolled: 1-line block ×3, first 2 shown]
	s_getpc_b64 s[4:5]
	s_add_u32 s4, s4, _ZN2at6native6invokeIZZZNS0_12_GLOBAL__N_121bessel_y1_kernel_cudaERNS_18TensorIteratorBaseEENKUlvE_clEvENKUlvE_clEvEUldE_j15function_traitsIS7_EEENT1_11result_typeERKT_PrKPcPKT0_PKN3c1010ScalarTypeEi@rel32@lo+4
	s_addc_u32 s5, s5, _ZN2at6native6invokeIZZZNS0_12_GLOBAL__N_121bessel_y1_kernel_cudaERNS_18TensorIteratorBaseEENKUlvE_clEvENKUlvE_clEvEUldE_j15function_traitsIS7_EEENT1_11result_typeERKT_PrKPcPKT0_PKN3c1010ScalarTypeEi@rel32@hi+12
	s_swappc_b64 s[30:31], s[4:5]
	v_add_co_u32 v4, s4, s36, v41
	v_add_co_ci_u32_e64 v5, null, s37, 0, s4
	s_and_b32 s5, s54, 0xff
	s_cmp_lt_i32 s5, 11
	s_cbranch_scc1 .LBB11_164
; %bb.158:
	s_and_b32 s6, 0xffff, s5
	s_cmp_gt_i32 s6, 25
	s_cbranch_scc0 .LBB11_167
; %bb.159:
	s_cmp_gt_i32 s6, 28
	s_cbranch_scc0 .LBB11_168
; %bb.160:
	;; [unrolled: 3-line block ×4, first 2 shown]
	s_mov_b32 s8, 0
	s_mov_b32 s4, -1
	s_cmp_eq_u32 s6, 46
	s_mov_b32 s7, 0
	s_cbranch_scc0 .LBB11_175
; %bb.163:
	v_cvt_f32_f64_e32 v2, v[0:1]
	s_mov_b32 s7, -1
	s_mov_b32 s4, 0
	v_bfe_u32 v3, v2, 16, 1
	v_cmp_o_f32_e32 vcc_lo, v2, v2
	v_add3_u32 v2, v2, v3, 0x7fff
	v_mov_b32_e32 v3, 0x7fc0
	v_cndmask_b32_sdwa v2, v3, v2, vcc_lo dst_sel:DWORD dst_unused:UNUSED_PAD src0_sel:DWORD src1_sel:WORD_1
	global_store_dword v[4:5], v2, off
	s_branch .LBB11_175
.LBB11_164:
	s_mov_b32 s7, 0
	s_mov_b32 s4, s59
	s_cbranch_execnz .LBB11_244
.LBB11_165:
	s_andn2_b32 vcc_lo, exec_lo, s7
	s_cbranch_vccnz .LBB11_282
.LBB11_166:
	v_add_nc_u32_e32 v43, 0x80, v43
	s_mov_b32 s5, -1
	s_branch .LBB11_283
.LBB11_167:
	s_mov_b32 s8, -1
	s_mov_b32 s7, 0
	s_mov_b32 s4, s59
	s_branch .LBB11_202
.LBB11_168:
	s_mov_b32 s8, -1
	s_mov_b32 s7, 0
	s_mov_b32 s4, s59
	s_branch .LBB11_185
.LBB11_169:
	s_andn2_saveexec_b32 s9, s9
	s_cbranch_execz .LBB11_51
.LBB11_170:
	v_add_f32_e64 v3, 0x46000000, |v2|
	s_andn2_b32 s8, s8, exec_lo
	v_and_b32_e32 v3, 0xff, v3
	v_cmp_ne_u32_e32 vcc_lo, 0, v3
	s_and_b32 s10, vcc_lo, exec_lo
	s_or_b32 s8, s8, s10
	s_or_b32 exec_lo, exec_lo, s9
	v_mov_b32_e32 v6, 0
	s_and_saveexec_b32 s9, s8
	s_cbranch_execnz .LBB11_52
	s_branch .LBB11_53
.LBB11_171:
	s_mov_b32 s8, -1
	s_mov_b32 s7, 0
	s_mov_b32 s4, s59
	s_branch .LBB11_181
.LBB11_172:
	s_andn2_saveexec_b32 s9, s9
	s_cbranch_execz .LBB11_63
.LBB11_173:
	v_add_f32_e64 v3, 0x42800000, |v2|
	s_andn2_b32 s8, s8, exec_lo
	v_and_b32_e32 v3, 0xff, v3
	v_cmp_ne_u32_e32 vcc_lo, 0, v3
	s_and_b32 s10, vcc_lo, exec_lo
	s_or_b32 s8, s8, s10
	s_or_b32 exec_lo, exec_lo, s9
	v_mov_b32_e32 v6, 0
	s_and_saveexec_b32 s9, s8
	s_cbranch_execnz .LBB11_64
	s_branch .LBB11_65
.LBB11_174:
	s_mov_b32 s8, -1
	s_mov_b32 s7, 0
	s_mov_b32 s4, s59
.LBB11_175:
	s_and_b32 vcc_lo, exec_lo, s8
	s_cbranch_vccz .LBB11_180
; %bb.176:
	s_cmp_eq_u32 s6, 44
	s_mov_b32 s4, -1
	s_cbranch_scc0 .LBB11_180
; %bb.177:
	v_cvt_f32_f64_e32 v2, v[0:1]
	v_mov_b32_e32 v3, 0xff
	s_mov_b32 s7, exec_lo
	v_bfe_u32 v6, v2, 23, 8
	v_cmpx_ne_u32_e32 0xff, v6
	s_cbranch_execz .LBB11_179
; %bb.178:
	v_and_b32_e32 v3, 0x400000, v2
	v_and_or_b32 v6, 0x3fffff, v2, v6
	v_lshrrev_b32_e32 v2, 23, v2
	v_cmp_ne_u32_e32 vcc_lo, 0, v3
	v_cmp_ne_u32_e64 s4, 0, v6
	s_and_b32 s4, vcc_lo, s4
	v_cndmask_b32_e64 v3, 0, 1, s4
	v_add_nc_u32_e32 v3, v2, v3
.LBB11_179:
	s_or_b32 exec_lo, exec_lo, s7
	s_mov_b32 s7, -1
	s_mov_b32 s4, 0
	global_store_byte v[4:5], v3, off
.LBB11_180:
	s_mov_b32 s8, 0
.LBB11_181:
	s_and_b32 vcc_lo, exec_lo, s8
	s_cbranch_vccz .LBB11_184
; %bb.182:
	s_cmp_eq_u32 s6, 29
	s_mov_b32 s4, -1
	s_cbranch_scc0 .LBB11_184
; %bb.183:
	v_trunc_f64_e32 v[2:3], v[0:1]
	s_mov_b32 s7, -1
	s_mov_b32 s4, 0
	s_mov_b32 s8, 0
	v_ldexp_f64 v[6:7], v[2:3], 0xffffffe0
	v_floor_f64_e32 v[6:7], v[6:7]
	v_fma_f64 v[2:3], 0xc1f00000, v[6:7], v[2:3]
	v_cvt_u32_f64_e32 v7, v[6:7]
	v_cvt_u32_f64_e32 v6, v[2:3]
	global_store_dwordx2 v[4:5], v[6:7], off
	s_branch .LBB11_185
.LBB11_184:
	s_mov_b32 s8, 0
.LBB11_185:
	s_and_b32 vcc_lo, exec_lo, s8
	s_cbranch_vccz .LBB11_201
; %bb.186:
	s_cmp_lt_i32 s6, 27
	s_mov_b32 s7, -1
	s_cbranch_scc1 .LBB11_192
; %bb.187:
	v_cvt_u32_f64_e32 v2, v[0:1]
	s_cmp_gt_i32 s6, 27
	s_cbranch_scc0 .LBB11_189
; %bb.188:
	s_mov_b32 s7, 0
	global_store_dword v[4:5], v2, off
.LBB11_189:
	s_andn2_b32 vcc_lo, exec_lo, s7
	s_cbranch_vccnz .LBB11_191
; %bb.190:
	global_store_short v[4:5], v2, off
.LBB11_191:
	s_mov_b32 s7, 0
.LBB11_192:
	s_andn2_b32 vcc_lo, exec_lo, s7
	s_cbranch_vccnz .LBB11_200
; %bb.193:
	v_cvt_f32_f64_e32 v2, v[0:1]
	v_mov_b32_e32 v6, 0x80
	s_mov_b32 s7, exec_lo
	v_and_b32_e32 v3, 0x7fffffff, v2
	v_cmpx_gt_u32_e32 0x43800000, v3
	s_cbranch_execz .LBB11_199
; %bb.194:
	v_cmp_lt_u32_e32 vcc_lo, 0x3bffffff, v3
	s_mov_b32 s8, 0
                                        ; implicit-def: $vgpr3
	s_and_saveexec_b32 s9, vcc_lo
	s_xor_b32 s9, exec_lo, s9
	s_cbranch_execz .LBB11_311
; %bb.195:
	v_bfe_u32 v3, v2, 20, 1
	s_mov_b32 s8, exec_lo
	v_add3_u32 v3, v2, v3, 0x487ffff
	v_lshrrev_b32_e32 v3, 20, v3
	s_andn2_saveexec_b32 s9, s9
	s_cbranch_execnz .LBB11_312
.LBB11_196:
	s_or_b32 exec_lo, exec_lo, s9
	v_mov_b32_e32 v6, 0
	s_and_saveexec_b32 s9, s8
.LBB11_197:
	v_lshrrev_b32_e32 v2, 24, v2
	v_and_or_b32 v6, 0x80, v2, v3
.LBB11_198:
	s_or_b32 exec_lo, exec_lo, s9
.LBB11_199:
	s_or_b32 exec_lo, exec_lo, s7
	global_store_byte v[4:5], v6, off
.LBB11_200:
	s_mov_b32 s7, -1
.LBB11_201:
	s_mov_b32 s8, 0
.LBB11_202:
	s_and_b32 vcc_lo, exec_lo, s8
	s_cbranch_vccz .LBB11_243
; %bb.203:
	s_cmp_gt_i32 s6, 22
	s_mov_b32 s8, -1
	s_cbranch_scc0 .LBB11_235
; %bb.204:
	s_cmp_lt_i32 s6, 24
	s_mov_b32 s7, -1
	s_cbranch_scc1 .LBB11_224
; %bb.205:
	s_cmp_gt_i32 s6, 24
	s_cbranch_scc0 .LBB11_213
; %bb.206:
	v_cvt_f32_f64_e32 v2, v[0:1]
	v_mov_b32_e32 v6, 0x80
	s_mov_b32 s7, exec_lo
	v_and_b32_e32 v3, 0x7fffffff, v2
	v_cmpx_gt_u32_e32 0x47800000, v3
	s_cbranch_execz .LBB11_212
; %bb.207:
	v_cmp_lt_u32_e32 vcc_lo, 0x37ffffff, v3
	s_mov_b32 s8, 0
                                        ; implicit-def: $vgpr3
	s_and_saveexec_b32 s9, vcc_lo
	s_xor_b32 s9, exec_lo, s9
	s_cbranch_execz .LBB11_314
; %bb.208:
	v_bfe_u32 v3, v2, 21, 1
	s_mov_b32 s8, exec_lo
	v_add3_u32 v3, v2, v3, 0x88fffff
	v_lshrrev_b32_e32 v3, 21, v3
	s_andn2_saveexec_b32 s9, s9
	s_cbranch_execnz .LBB11_315
.LBB11_209:
	s_or_b32 exec_lo, exec_lo, s9
	v_mov_b32_e32 v6, 0
	s_and_saveexec_b32 s9, s8
.LBB11_210:
	v_lshrrev_b32_e32 v2, 24, v2
	v_and_or_b32 v6, 0x80, v2, v3
.LBB11_211:
	s_or_b32 exec_lo, exec_lo, s9
.LBB11_212:
	s_or_b32 exec_lo, exec_lo, s7
	s_mov_b32 s7, 0
	global_store_byte v[4:5], v6, off
.LBB11_213:
	s_and_b32 vcc_lo, exec_lo, s7
	s_cbranch_vccz .LBB11_223
; %bb.214:
	v_cvt_f32_f64_e32 v2, v[0:1]
	s_mov_b32 s7, exec_lo
                                        ; implicit-def: $vgpr3
	v_and_b32_e32 v6, 0x7fffffff, v2
	v_cmpx_gt_u32_e32 0x43f00000, v6
	s_xor_b32 s7, exec_lo, s7
	s_cbranch_execz .LBB11_220
; %bb.215:
	s_mov_b32 s8, exec_lo
                                        ; implicit-def: $vgpr3
	v_cmpx_lt_u32_e32 0x3c7fffff, v6
	s_xor_b32 s8, exec_lo, s8
; %bb.216:
	v_bfe_u32 v3, v2, 20, 1
	v_add3_u32 v3, v2, v3, 0x407ffff
	v_and_b32_e32 v6, 0xff00000, v3
	v_lshrrev_b32_e32 v3, 20, v3
	v_cmp_ne_u32_e32 vcc_lo, 0x7f00000, v6
	v_cndmask_b32_e32 v3, 0x7e, v3, vcc_lo
; %bb.217:
	s_andn2_saveexec_b32 s8, s8
; %bb.218:
	v_add_f32_e64 v3, 0x46800000, |v2|
; %bb.219:
	s_or_b32 exec_lo, exec_lo, s8
                                        ; implicit-def: $vgpr6
.LBB11_220:
	s_andn2_saveexec_b32 s7, s7
; %bb.221:
	v_mov_b32_e32 v3, 0x7f
	v_cmp_lt_u32_e32 vcc_lo, 0x7f800000, v6
	v_cndmask_b32_e32 v3, 0x7e, v3, vcc_lo
; %bb.222:
	s_or_b32 exec_lo, exec_lo, s7
	v_lshrrev_b32_e32 v2, 24, v2
	v_and_or_b32 v2, 0x80, v2, v3
	global_store_byte v[4:5], v2, off
.LBB11_223:
	s_mov_b32 s7, 0
.LBB11_224:
	s_andn2_b32 vcc_lo, exec_lo, s7
	s_cbranch_vccnz .LBB11_234
; %bb.225:
	v_cvt_f32_f64_e32 v2, v[0:1]
	s_mov_b32 s7, exec_lo
                                        ; implicit-def: $vgpr3
	v_and_b32_e32 v6, 0x7fffffff, v2
	v_cmpx_gt_u32_e32 0x47800000, v6
	s_xor_b32 s7, exec_lo, s7
	s_cbranch_execz .LBB11_231
; %bb.226:
	s_mov_b32 s8, exec_lo
                                        ; implicit-def: $vgpr3
	v_cmpx_lt_u32_e32 0x387fffff, v6
	s_xor_b32 s8, exec_lo, s8
; %bb.227:
	v_bfe_u32 v3, v2, 21, 1
	v_add3_u32 v3, v2, v3, 0x80fffff
	v_lshrrev_b32_e32 v3, 21, v3
; %bb.228:
	s_andn2_saveexec_b32 s8, s8
; %bb.229:
	v_add_f32_e64 v3, 0x43000000, |v2|
; %bb.230:
	s_or_b32 exec_lo, exec_lo, s8
                                        ; implicit-def: $vgpr6
.LBB11_231:
	s_andn2_saveexec_b32 s7, s7
; %bb.232:
	v_mov_b32_e32 v3, 0x7f
	v_cmp_lt_u32_e32 vcc_lo, 0x7f800000, v6
	v_cndmask_b32_e32 v3, 0x7c, v3, vcc_lo
; %bb.233:
	s_or_b32 exec_lo, exec_lo, s7
	v_lshrrev_b32_e32 v2, 24, v2
	v_and_or_b32 v2, 0x80, v2, v3
	global_store_byte v[4:5], v2, off
.LBB11_234:
	s_mov_b32 s8, 0
	s_mov_b32 s7, -1
.LBB11_235:
	s_andn2_b32 vcc_lo, exec_lo, s8
	s_cbranch_vccnz .LBB11_243
; %bb.236:
	s_cmp_gt_i32 s6, 14
	s_mov_b32 s8, -1
	s_cbranch_scc0 .LBB11_240
; %bb.237:
	s_cmp_eq_u32 s6, 15
	s_mov_b32 s4, -1
	s_cbranch_scc0 .LBB11_239
; %bb.238:
	v_cvt_f32_f64_e32 v2, v[0:1]
	s_mov_b32 s7, -1
	s_mov_b32 s4, 0
	v_bfe_u32 v3, v2, 16, 1
	v_cmp_o_f32_e32 vcc_lo, v2, v2
	v_add3_u32 v2, v2, v3, 0x7fff
	v_mov_b32_e32 v3, 0x7fc0
	v_cndmask_b32_sdwa v2, v3, v2, vcc_lo dst_sel:DWORD dst_unused:UNUSED_PAD src0_sel:DWORD src1_sel:WORD_1
	global_store_short v[4:5], v2, off
.LBB11_239:
	s_mov_b32 s8, 0
.LBB11_240:
	s_and_b32 vcc_lo, exec_lo, s8
	s_cbranch_vccz .LBB11_243
; %bb.241:
	s_cmp_eq_u32 s6, 11
	s_mov_b32 s4, -1
	s_cbranch_scc0 .LBB11_243
; %bb.242:
	v_cmp_neq_f64_e32 vcc_lo, 0, v[0:1]
	s_mov_b32 s7, -1
	s_mov_b32 s4, 0
	v_cndmask_b32_e64 v2, 0, 1, vcc_lo
	global_store_byte v[4:5], v2, off
.LBB11_243:
	s_branch .LBB11_165
.LBB11_244:
	s_and_b32 s5, 0xffff, s5
	s_mov_b32 s6, -1
	s_cmp_lt_i32 s5, 5
	s_cbranch_scc1 .LBB11_265
; %bb.245:
	s_cmp_lt_i32 s5, 8
	s_cbranch_scc1 .LBB11_255
; %bb.246:
	;; [unrolled: 3-line block ×3, first 2 shown]
	s_cmp_gt_i32 s5, 9
	s_cbranch_scc0 .LBB11_249
; %bb.248:
	v_mov_b32_e32 v2, 0
	s_mov_b32 s6, 0
	v_mov_b32_e32 v3, v2
	global_store_dwordx4 v[4:5], v[0:3], off
.LBB11_249:
	s_andn2_b32 vcc_lo, exec_lo, s6
	s_cbranch_vccnz .LBB11_251
; %bb.250:
	v_cvt_f32_f64_e32 v2, v[0:1]
	v_mov_b32_e32 v3, 0
	global_store_dwordx2 v[4:5], v[2:3], off
.LBB11_251:
	s_mov_b32 s6, 0
.LBB11_252:
	s_andn2_b32 vcc_lo, exec_lo, s6
	s_cbranch_vccnz .LBB11_254
; %bb.253:
	v_and_or_b32 v2, 0x1ff, v1, v0
	v_lshrrev_b32_e32 v3, 8, v1
	v_bfe_u32 v6, v1, 20, 11
	v_cmp_ne_u32_e32 vcc_lo, 0, v2
	v_sub_nc_u32_e32 v7, 0x3f1, v6
	v_add_nc_u32_e32 v6, 0xfffffc10, v6
	v_cndmask_b32_e64 v2, 0, 1, vcc_lo
	v_and_or_b32 v2, 0xffe, v3, v2
	v_med3_i32 v3, v7, 0, 13
	v_or_b32_e32 v7, 0x1000, v2
	v_lshrrev_b32_e32 v8, v3, v7
	v_lshlrev_b32_e32 v3, v3, v8
	v_cmp_ne_u32_e32 vcc_lo, v3, v7
	v_lshl_or_b32 v7, v6, 12, v2
	v_cndmask_b32_e64 v3, 0, 1, vcc_lo
	v_cmp_gt_i32_e32 vcc_lo, 1, v6
	v_or_b32_e32 v3, v8, v3
	v_cndmask_b32_e32 v3, v7, v3, vcc_lo
	v_and_b32_e32 v7, 7, v3
	v_lshrrev_b32_e32 v3, 2, v3
	v_cmp_lt_i32_e32 vcc_lo, 5, v7
	v_cndmask_b32_e64 v8, 0, 1, vcc_lo
	v_cmp_eq_u32_e32 vcc_lo, 3, v7
	v_cndmask_b32_e64 v7, 0, 1, vcc_lo
	v_cmp_ne_u32_e32 vcc_lo, 0, v2
	v_or_b32_e32 v7, v7, v8
	v_mov_b32_e32 v8, 0x7e00
	v_add_nc_u32_e32 v3, v3, v7
	v_cndmask_b32_e32 v2, 0x7c00, v8, vcc_lo
	v_cmp_gt_i32_e32 vcc_lo, 31, v6
	v_cndmask_b32_e32 v3, 0x7c00, v3, vcc_lo
	v_cmp_eq_u32_e32 vcc_lo, 0x40f, v6
	v_cndmask_b32_e32 v2, v3, v2, vcc_lo
	v_lshrrev_b32_e32 v3, 16, v1
	v_and_or_b32 v2, 0x8000, v3, v2
	v_and_b32_e32 v2, 0xffff, v2
	global_store_dword v[4:5], v2, off
.LBB11_254:
	s_mov_b32 s6, 0
.LBB11_255:
	s_andn2_b32 vcc_lo, exec_lo, s6
	s_cbranch_vccnz .LBB11_264
; %bb.256:
	s_cmp_lt_i32 s5, 6
	s_mov_b32 s6, -1
	s_cbranch_scc1 .LBB11_262
; %bb.257:
	s_cmp_gt_i32 s5, 6
	s_cbranch_scc0 .LBB11_259
; %bb.258:
	s_mov_b32 s6, 0
	global_store_dwordx2 v[4:5], v[0:1], off
.LBB11_259:
	s_andn2_b32 vcc_lo, exec_lo, s6
	s_cbranch_vccnz .LBB11_261
; %bb.260:
	v_cvt_f32_f64_e32 v2, v[0:1]
	global_store_dword v[4:5], v2, off
.LBB11_261:
	s_mov_b32 s6, 0
.LBB11_262:
	s_andn2_b32 vcc_lo, exec_lo, s6
	s_cbranch_vccnz .LBB11_264
; %bb.263:
	v_and_or_b32 v2, 0x1ff, v1, v0
	v_lshrrev_b32_e32 v3, 8, v1
	v_bfe_u32 v6, v1, 20, 11
	v_cmp_ne_u32_e32 vcc_lo, 0, v2
	v_sub_nc_u32_e32 v7, 0x3f1, v6
	v_add_nc_u32_e32 v6, 0xfffffc10, v6
	v_cndmask_b32_e64 v2, 0, 1, vcc_lo
	v_and_or_b32 v2, 0xffe, v3, v2
	v_med3_i32 v3, v7, 0, 13
	v_or_b32_e32 v7, 0x1000, v2
	v_lshrrev_b32_e32 v8, v3, v7
	v_lshlrev_b32_e32 v3, v3, v8
	v_cmp_ne_u32_e32 vcc_lo, v3, v7
	v_lshl_or_b32 v7, v6, 12, v2
	v_cndmask_b32_e64 v3, 0, 1, vcc_lo
	v_cmp_gt_i32_e32 vcc_lo, 1, v6
	v_or_b32_e32 v3, v8, v3
	v_cndmask_b32_e32 v3, v7, v3, vcc_lo
	v_and_b32_e32 v7, 7, v3
	v_lshrrev_b32_e32 v3, 2, v3
	v_cmp_lt_i32_e32 vcc_lo, 5, v7
	v_cndmask_b32_e64 v8, 0, 1, vcc_lo
	v_cmp_eq_u32_e32 vcc_lo, 3, v7
	v_cndmask_b32_e64 v7, 0, 1, vcc_lo
	v_cmp_ne_u32_e32 vcc_lo, 0, v2
	v_or_b32_e32 v7, v7, v8
	v_mov_b32_e32 v8, 0x7e00
	v_add_nc_u32_e32 v3, v3, v7
	v_cndmask_b32_e32 v2, 0x7c00, v8, vcc_lo
	v_cmp_gt_i32_e32 vcc_lo, 31, v6
	v_cndmask_b32_e32 v3, 0x7c00, v3, vcc_lo
	v_cmp_eq_u32_e32 vcc_lo, 0x40f, v6
	v_cndmask_b32_e32 v2, v3, v2, vcc_lo
	v_lshrrev_b32_e32 v3, 16, v1
	v_and_or_b32 v2, 0x8000, v3, v2
	global_store_short v[4:5], v2, off
.LBB11_264:
	s_mov_b32 s6, 0
.LBB11_265:
	s_andn2_b32 vcc_lo, exec_lo, s6
	s_cbranch_vccnz .LBB11_281
; %bb.266:
	s_cmp_lt_i32 s5, 2
	s_mov_b32 s6, -1
	s_cbranch_scc1 .LBB11_276
; %bb.267:
	s_cmp_lt_i32 s5, 3
	s_cbranch_scc1 .LBB11_273
; %bb.268:
	s_cmp_gt_i32 s5, 3
	s_cbranch_scc0 .LBB11_270
; %bb.269:
	v_trunc_f64_e32 v[2:3], v[0:1]
	s_mov_b32 s6, 0
	v_ldexp_f64 v[6:7], v[2:3], 0xffffffe0
	v_floor_f64_e32 v[6:7], v[6:7]
	v_fma_f64 v[2:3], 0xc1f00000, v[6:7], v[2:3]
	v_cvt_i32_f64_e32 v7, v[6:7]
	v_cvt_u32_f64_e32 v6, v[2:3]
	global_store_dwordx2 v[4:5], v[6:7], off
.LBB11_270:
	s_andn2_b32 vcc_lo, exec_lo, s6
	s_cbranch_vccnz .LBB11_272
; %bb.271:
	v_cvt_i32_f64_e32 v2, v[0:1]
	global_store_dword v[4:5], v2, off
.LBB11_272:
	s_mov_b32 s6, 0
.LBB11_273:
	s_andn2_b32 vcc_lo, exec_lo, s6
	s_cbranch_vccnz .LBB11_275
; %bb.274:
	v_cvt_i32_f64_e32 v2, v[0:1]
	global_store_short v[4:5], v2, off
.LBB11_275:
	s_mov_b32 s6, 0
.LBB11_276:
	s_andn2_b32 vcc_lo, exec_lo, s6
	s_cbranch_vccnz .LBB11_281
; %bb.277:
	s_cmp_gt_i32 s5, 0
	s_mov_b32 s5, -1
	s_cbranch_scc0 .LBB11_279
; %bb.278:
	v_cvt_i32_f64_e32 v2, v[0:1]
	s_mov_b32 s5, 0
	global_store_byte v[4:5], v2, off
.LBB11_279:
	s_andn2_b32 vcc_lo, exec_lo, s5
	s_cbranch_vccnz .LBB11_281
; %bb.280:
	v_trunc_f64_e32 v[0:1], v[0:1]
	v_ldexp_f64 v[2:3], v[0:1], 0xffffffe0
	v_floor_f64_e32 v[2:3], v[2:3]
	v_fma_f64 v[0:1], 0xc1f00000, v[2:3], v[0:1]
	v_cvt_u32_f64_e32 v0, v[0:1]
	global_store_byte v[4:5], v0, off
.LBB11_281:
	s_branch .LBB11_166
.LBB11_282:
	s_mov_b32 s5, 0
                                        ; implicit-def: $vgpr43
.LBB11_283:
	s_andn2_b32 s6, s59, exec_lo
	s_and_b32 s4, s4, exec_lo
	s_orn2_b32 s7, s5, exec_lo
	s_or_b32 s61, s6, s4
.LBB11_284:
	s_or_b32 exec_lo, exec_lo, s62
	s_mov_b32 s4, 0
	s_mov_b32 s6, 0
                                        ; implicit-def: $sgpr5
                                        ; implicit-def: $vgpr4_vgpr5
                                        ; implicit-def: $vgpr0_vgpr1
	s_and_saveexec_b32 s62, s7
	s_cbranch_execz .LBB11_529
; %bb.285:
	s_mov_b32 s7, -1
	s_mov_b32 s64, s61
	s_mov_b32 s63, exec_lo
	v_cmpx_gt_i32_e64 s56, v43
	s_cbranch_execz .LBB11_429
; %bb.286:
	s_andn2_b32 vcc_lo, exec_lo, s52
	s_cbranch_vccnz .LBB11_291
; %bb.287:
	s_andn2_b32 vcc_lo, exec_lo, s58
	s_cbranch_vccnz .LBB11_292
; %bb.288:
	s_add_i32 s9, s57, 1
	s_cmp_eq_u32 s50, 2
	s_cbranch_scc1 .LBB11_293
; %bb.289:
	v_mov_b32_e32 v2, 0
	v_mov_b32_e32 v41, 0
	;; [unrolled: 1-line block ×3, first 2 shown]
	s_and_b32 s8, s9, 28
	s_mov_b32 s10, 0
	s_mov_b64 s[4:5], s[28:29]
	s_mov_b64 s[6:7], s[48:49]
.LBB11_290:                             ; =>This Inner Loop Header: Depth=1
	s_clause 0x1
	s_load_dwordx8 s[12:19], s[4:5], 0x4
	s_load_dwordx4 s[20:23], s[4:5], 0x24
	s_load_dwordx8 s[64:71], s[6:7], 0x0
	s_add_u32 s4, s4, 48
	s_addc_u32 s5, s5, 0
	s_add_i32 s10, s10, 4
	s_add_u32 s6, s6, 32
	s_addc_u32 s7, s7, 0
	s_cmp_eq_u32 s8, s10
	s_waitcnt lgkmcnt(0)
	v_mul_hi_u32 v1, s13, v0
	v_add_nc_u32_e32 v1, v0, v1
	v_lshrrev_b32_e32 v1, s14, v1
	v_mul_hi_u32 v3, s16, v1
	v_mul_lo_u32 v5, v1, s12
	v_add_nc_u32_e32 v3, v1, v3
	v_sub_nc_u32_e32 v0, v0, v5
	v_lshrrev_b32_e32 v3, s17, v3
	v_mul_lo_u32 v5, v0, s64
	v_mul_lo_u32 v7, v0, s65
	v_mul_hi_u32 v4, s19, v3
	v_add_nc_u32_e32 v4, v3, v4
	v_lshrrev_b32_e32 v4, s20, v4
	v_mul_hi_u32 v6, s22, v4
	v_mul_lo_u32 v8, v4, s18
	v_add_nc_u32_e32 v0, v4, v6
	v_mul_lo_u32 v6, v3, s15
	v_sub_nc_u32_e32 v3, v3, v8
	v_lshrrev_b32_e32 v0, s23, v0
	v_mul_lo_u32 v8, v3, s68
	v_mul_lo_u32 v3, v3, s69
	v_sub_nc_u32_e32 v1, v1, v6
	v_mul_lo_u32 v9, v0, s21
	v_mul_lo_u32 v6, v1, s66
	;; [unrolled: 1-line block ×3, first 2 shown]
	v_sub_nc_u32_e32 v4, v4, v9
	v_add3_u32 v5, v5, v41, v6
	v_mul_lo_u32 v9, v4, s70
	v_mul_lo_u32 v4, v4, s71
	v_add3_u32 v1, v7, v2, v1
	v_add3_u32 v41, v8, v5, v9
	;; [unrolled: 1-line block ×3, first 2 shown]
	s_cbranch_scc0 .LBB11_290
	s_branch .LBB11_294
.LBB11_291:
	s_mov_b32 s4, -1
                                        ; implicit-def: $vgpr41
                                        ; implicit-def: $vgpr2
	s_branch .LBB11_298
.LBB11_292:
	v_mov_b32_e32 v41, 0
	v_mov_b32_e32 v2, 0
	s_branch .LBB11_297
.LBB11_293:
	v_mov_b32_e32 v41, 0
	v_mov_b32_e32 v2, 0
	;; [unrolled: 1-line block ×3, first 2 shown]
	s_mov_b32 s8, 0
.LBB11_294:
	s_and_b32 s9, s9, 3
	s_cmp_eq_u32 s9, 0
	s_cbranch_scc1 .LBB11_297
; %bb.295:
	s_lshl_b32 s4, s8, 3
	s_mul_i32 s6, s8, 12
	s_add_u32 s4, s28, s4
	s_addc_u32 s5, s29, 0
	s_add_u32 s4, s4, 0xc4
	s_addc_u32 s5, s5, 0
	;; [unrolled: 2-line block ×3, first 2 shown]
	.p2align	6
.LBB11_296:                             ; =>This Inner Loop Header: Depth=1
	s_clause 0x1
	s_load_dwordx2 s[10:11], s[6:7], 0x4
	s_load_dword s8, s[6:7], 0xc
	s_load_dwordx2 s[12:13], s[4:5], 0x0
	s_add_u32 s6, s6, 12
	s_addc_u32 s7, s7, 0
	s_add_u32 s4, s4, 8
	s_addc_u32 s5, s5, 0
	s_add_i32 s9, s9, -1
	s_cmp_lg_u32 s9, 0
	s_waitcnt lgkmcnt(0)
	v_mul_hi_u32 v1, s11, v0
	v_add_nc_u32_e32 v1, v0, v1
	v_lshrrev_b32_e32 v1, s8, v1
	v_mul_lo_u32 v3, v1, s10
	v_sub_nc_u32_e32 v0, v0, v3
	v_mad_u64_u32 v[41:42], null, v0, s12, v[41:42]
	v_mad_u64_u32 v[2:3], null, v0, s13, v[2:3]
	v_mov_b32_e32 v0, v1
	s_cbranch_scc1 .LBB11_296
.LBB11_297:
	s_mov_b32 s4, 0
.LBB11_298:
	s_andn2_b32 vcc_lo, exec_lo, s4
	s_cbranch_vccnz .LBB11_301
; %bb.299:
	s_waitcnt lgkmcnt(0)
	v_mul_hi_u32 v0, s45, v43
	s_andn2_b32 vcc_lo, exec_lo, s55
	v_add_nc_u32_e32 v0, v43, v0
	v_lshrrev_b32_e32 v0, s46, v0
	v_mul_lo_u32 v1, v0, s44
	v_sub_nc_u32_e32 v1, v43, v1
	v_mul_lo_u32 v41, v1, s40
	v_mul_lo_u32 v2, v1, s41
	s_cbranch_vccnz .LBB11_301
; %bb.300:
	v_mul_hi_u32 v1, s34, v0
	v_add_nc_u32_e32 v1, v0, v1
	v_lshrrev_b32_e32 v1, s35, v1
	v_mul_lo_u32 v1, v1, s47
	v_sub_nc_u32_e32 v0, v0, v1
	v_mad_u64_u32 v[41:42], null, v0, s42, v[41:42]
	v_mad_u64_u32 v[2:3], null, v0, s43, v[2:3]
.LBB11_301:
	s_waitcnt lgkmcnt(0)
	v_mov_b32_e32 v0, s38
	v_mov_b32_e32 v1, s39
	;; [unrolled: 1-line block ×3, first 2 shown]
	s_getpc_b64 s[4:5]
	s_add_u32 s4, s4, _ZN2at6native6invokeIZZZNS0_12_GLOBAL__N_121bessel_y1_kernel_cudaERNS_18TensorIteratorBaseEENKUlvE_clEvENKUlvE_clEvEUldE_j15function_traitsIS7_EEENT1_11result_typeERKT_PrKPcPKT0_PKN3c1010ScalarTypeEi@rel32@lo+4
	s_addc_u32 s5, s5, _ZN2at6native6invokeIZZZNS0_12_GLOBAL__N_121bessel_y1_kernel_cudaERNS_18TensorIteratorBaseEENKUlvE_clEvENKUlvE_clEvEUldE_j15function_traitsIS7_EEENT1_11result_typeERKT_PrKPcPKT0_PKN3c1010ScalarTypeEi@rel32@hi+12
	s_swappc_b64 s[30:31], s[4:5]
	v_add_co_u32 v4, s4, s36, v41
	v_add_co_ci_u32_e64 v5, null, s37, 0, s4
	s_and_b32 s5, s54, 0xff
	s_cmp_lt_i32 s5, 11
	s_cbranch_scc1 .LBB11_308
; %bb.302:
	s_and_b32 s6, 0xffff, s5
	s_cmp_gt_i32 s6, 25
	s_cbranch_scc0 .LBB11_309
; %bb.303:
	s_cmp_gt_i32 s6, 28
	s_cbranch_scc0 .LBB11_310
; %bb.304:
	;; [unrolled: 3-line block ×4, first 2 shown]
	s_mov_b32 s8, 0
	s_mov_b32 s4, -1
	s_cmp_eq_u32 s6, 46
	s_mov_b32 s7, 0
	s_cbranch_scc0 .LBB11_317
; %bb.307:
	v_cvt_f32_f64_e32 v2, v[0:1]
	s_mov_b32 s7, -1
	s_mov_b32 s4, 0
	v_bfe_u32 v3, v2, 16, 1
	v_cmp_o_f32_e32 vcc_lo, v2, v2
	v_add3_u32 v2, v2, v3, 0x7fff
	v_mov_b32_e32 v3, 0x7fc0
	v_cndmask_b32_sdwa v2, v3, v2, vcc_lo dst_sel:DWORD dst_unused:UNUSED_PAD src0_sel:DWORD src1_sel:WORD_1
	global_store_dword v[4:5], v2, off
	s_branch .LBB11_317
.LBB11_308:
	s_mov_b32 s6, -1
	s_mov_b32 s7, 0
	s_mov_b32 s4, s61
	s_branch .LBB11_386
.LBB11_309:
	s_mov_b32 s8, -1
	s_mov_b32 s7, 0
	s_mov_b32 s4, s61
	s_branch .LBB11_344
.LBB11_310:
	s_mov_b32 s8, -1
	s_mov_b32 s7, 0
	s_mov_b32 s4, s61
	s_branch .LBB11_327
.LBB11_311:
	s_andn2_saveexec_b32 s9, s9
	s_cbranch_execz .LBB11_196
.LBB11_312:
	v_add_f32_e64 v3, 0x46000000, |v2|
	s_andn2_b32 s8, s8, exec_lo
	v_and_b32_e32 v3, 0xff, v3
	v_cmp_ne_u32_e32 vcc_lo, 0, v3
	s_and_b32 s10, vcc_lo, exec_lo
	s_or_b32 s8, s8, s10
	s_or_b32 exec_lo, exec_lo, s9
	v_mov_b32_e32 v6, 0
	s_and_saveexec_b32 s9, s8
	s_cbranch_execnz .LBB11_197
	s_branch .LBB11_198
.LBB11_313:
	s_mov_b32 s8, -1
	s_mov_b32 s7, 0
	s_mov_b32 s4, s61
	s_branch .LBB11_323
.LBB11_314:
	s_andn2_saveexec_b32 s9, s9
	s_cbranch_execz .LBB11_209
.LBB11_315:
	v_add_f32_e64 v3, 0x42800000, |v2|
	s_andn2_b32 s8, s8, exec_lo
	v_and_b32_e32 v3, 0xff, v3
	v_cmp_ne_u32_e32 vcc_lo, 0, v3
	s_and_b32 s10, vcc_lo, exec_lo
	s_or_b32 s8, s8, s10
	s_or_b32 exec_lo, exec_lo, s9
	v_mov_b32_e32 v6, 0
	s_and_saveexec_b32 s9, s8
	s_cbranch_execnz .LBB11_210
	s_branch .LBB11_211
.LBB11_316:
	s_mov_b32 s8, -1
	s_mov_b32 s7, 0
	s_mov_b32 s4, s61
.LBB11_317:
	s_and_b32 vcc_lo, exec_lo, s8
	s_cbranch_vccz .LBB11_322
; %bb.318:
	s_cmp_eq_u32 s6, 44
	s_mov_b32 s4, -1
	s_cbranch_scc0 .LBB11_322
; %bb.319:
	v_cvt_f32_f64_e32 v2, v[0:1]
	v_mov_b32_e32 v3, 0xff
	s_mov_b32 s7, exec_lo
	v_bfe_u32 v6, v2, 23, 8
	v_cmpx_ne_u32_e32 0xff, v6
	s_cbranch_execz .LBB11_321
; %bb.320:
	v_and_b32_e32 v3, 0x400000, v2
	v_and_or_b32 v6, 0x3fffff, v2, v6
	v_lshrrev_b32_e32 v2, 23, v2
	v_cmp_ne_u32_e32 vcc_lo, 0, v3
	v_cmp_ne_u32_e64 s4, 0, v6
	s_and_b32 s4, vcc_lo, s4
	v_cndmask_b32_e64 v3, 0, 1, s4
	v_add_nc_u32_e32 v3, v2, v3
.LBB11_321:
	s_or_b32 exec_lo, exec_lo, s7
	s_mov_b32 s7, -1
	s_mov_b32 s4, 0
	global_store_byte v[4:5], v3, off
.LBB11_322:
	s_mov_b32 s8, 0
.LBB11_323:
	s_and_b32 vcc_lo, exec_lo, s8
	s_cbranch_vccz .LBB11_326
; %bb.324:
	s_cmp_eq_u32 s6, 29
	s_mov_b32 s4, -1
	s_cbranch_scc0 .LBB11_326
; %bb.325:
	v_trunc_f64_e32 v[2:3], v[0:1]
	s_mov_b32 s7, -1
	s_mov_b32 s4, 0
	s_mov_b32 s8, 0
	v_ldexp_f64 v[6:7], v[2:3], 0xffffffe0
	v_floor_f64_e32 v[6:7], v[6:7]
	v_fma_f64 v[2:3], 0xc1f00000, v[6:7], v[2:3]
	v_cvt_u32_f64_e32 v7, v[6:7]
	v_cvt_u32_f64_e32 v6, v[2:3]
	global_store_dwordx2 v[4:5], v[6:7], off
	s_branch .LBB11_327
.LBB11_326:
	s_mov_b32 s8, 0
.LBB11_327:
	s_and_b32 vcc_lo, exec_lo, s8
	s_cbranch_vccz .LBB11_343
; %bb.328:
	s_cmp_lt_i32 s6, 27
	s_mov_b32 s7, -1
	s_cbranch_scc1 .LBB11_334
; %bb.329:
	v_cvt_u32_f64_e32 v2, v[0:1]
	s_cmp_gt_i32 s6, 27
	s_cbranch_scc0 .LBB11_331
; %bb.330:
	s_mov_b32 s7, 0
	global_store_dword v[4:5], v2, off
.LBB11_331:
	s_andn2_b32 vcc_lo, exec_lo, s7
	s_cbranch_vccnz .LBB11_333
; %bb.332:
	global_store_short v[4:5], v2, off
.LBB11_333:
	s_mov_b32 s7, 0
.LBB11_334:
	s_andn2_b32 vcc_lo, exec_lo, s7
	s_cbranch_vccnz .LBB11_342
; %bb.335:
	v_cvt_f32_f64_e32 v2, v[0:1]
	v_mov_b32_e32 v6, 0x80
	s_mov_b32 s7, exec_lo
	v_and_b32_e32 v3, 0x7fffffff, v2
	v_cmpx_gt_u32_e32 0x43800000, v3
	s_cbranch_execz .LBB11_341
; %bb.336:
	v_cmp_lt_u32_e32 vcc_lo, 0x3bffffff, v3
	s_mov_b32 s8, 0
                                        ; implicit-def: $vgpr3
	s_and_saveexec_b32 s9, vcc_lo
	s_xor_b32 s9, exec_lo, s9
	s_cbranch_execz .LBB11_454
; %bb.337:
	v_bfe_u32 v3, v2, 20, 1
	s_mov_b32 s8, exec_lo
	v_add3_u32 v3, v2, v3, 0x487ffff
	v_lshrrev_b32_e32 v3, 20, v3
	s_andn2_saveexec_b32 s9, s9
	s_cbranch_execnz .LBB11_455
.LBB11_338:
	s_or_b32 exec_lo, exec_lo, s9
	v_mov_b32_e32 v6, 0
	s_and_saveexec_b32 s9, s8
.LBB11_339:
	v_lshrrev_b32_e32 v2, 24, v2
	v_and_or_b32 v6, 0x80, v2, v3
.LBB11_340:
	s_or_b32 exec_lo, exec_lo, s9
.LBB11_341:
	s_or_b32 exec_lo, exec_lo, s7
	global_store_byte v[4:5], v6, off
.LBB11_342:
	s_mov_b32 s7, -1
.LBB11_343:
	s_mov_b32 s8, 0
.LBB11_344:
	s_and_b32 vcc_lo, exec_lo, s8
	s_cbranch_vccz .LBB11_385
; %bb.345:
	s_cmp_gt_i32 s6, 22
	s_mov_b32 s8, -1
	s_cbranch_scc0 .LBB11_377
; %bb.346:
	s_cmp_lt_i32 s6, 24
	s_mov_b32 s7, -1
	s_cbranch_scc1 .LBB11_366
; %bb.347:
	s_cmp_gt_i32 s6, 24
	s_cbranch_scc0 .LBB11_355
; %bb.348:
	v_cvt_f32_f64_e32 v2, v[0:1]
	v_mov_b32_e32 v6, 0x80
	s_mov_b32 s7, exec_lo
	v_and_b32_e32 v3, 0x7fffffff, v2
	v_cmpx_gt_u32_e32 0x47800000, v3
	s_cbranch_execz .LBB11_354
; %bb.349:
	v_cmp_lt_u32_e32 vcc_lo, 0x37ffffff, v3
	s_mov_b32 s8, 0
                                        ; implicit-def: $vgpr3
	s_and_saveexec_b32 s9, vcc_lo
	s_xor_b32 s9, exec_lo, s9
	s_cbranch_execz .LBB11_456
; %bb.350:
	v_bfe_u32 v3, v2, 21, 1
	s_mov_b32 s8, exec_lo
	v_add3_u32 v3, v2, v3, 0x88fffff
	v_lshrrev_b32_e32 v3, 21, v3
	s_andn2_saveexec_b32 s9, s9
	s_cbranch_execnz .LBB11_457
.LBB11_351:
	s_or_b32 exec_lo, exec_lo, s9
	v_mov_b32_e32 v6, 0
	s_and_saveexec_b32 s9, s8
.LBB11_352:
	v_lshrrev_b32_e32 v2, 24, v2
	v_and_or_b32 v6, 0x80, v2, v3
.LBB11_353:
	s_or_b32 exec_lo, exec_lo, s9
.LBB11_354:
	s_or_b32 exec_lo, exec_lo, s7
	s_mov_b32 s7, 0
	global_store_byte v[4:5], v6, off
.LBB11_355:
	s_and_b32 vcc_lo, exec_lo, s7
	s_cbranch_vccz .LBB11_365
; %bb.356:
	v_cvt_f32_f64_e32 v2, v[0:1]
	s_mov_b32 s7, exec_lo
                                        ; implicit-def: $vgpr3
	v_and_b32_e32 v6, 0x7fffffff, v2
	v_cmpx_gt_u32_e32 0x43f00000, v6
	s_xor_b32 s7, exec_lo, s7
	s_cbranch_execz .LBB11_362
; %bb.357:
	s_mov_b32 s8, exec_lo
                                        ; implicit-def: $vgpr3
	v_cmpx_lt_u32_e32 0x3c7fffff, v6
	s_xor_b32 s8, exec_lo, s8
; %bb.358:
	v_bfe_u32 v3, v2, 20, 1
	v_add3_u32 v3, v2, v3, 0x407ffff
	v_and_b32_e32 v6, 0xff00000, v3
	v_lshrrev_b32_e32 v3, 20, v3
	v_cmp_ne_u32_e32 vcc_lo, 0x7f00000, v6
	v_cndmask_b32_e32 v3, 0x7e, v3, vcc_lo
; %bb.359:
	s_andn2_saveexec_b32 s8, s8
; %bb.360:
	v_add_f32_e64 v3, 0x46800000, |v2|
; %bb.361:
	s_or_b32 exec_lo, exec_lo, s8
                                        ; implicit-def: $vgpr6
.LBB11_362:
	s_andn2_saveexec_b32 s7, s7
; %bb.363:
	v_mov_b32_e32 v3, 0x7f
	v_cmp_lt_u32_e32 vcc_lo, 0x7f800000, v6
	v_cndmask_b32_e32 v3, 0x7e, v3, vcc_lo
; %bb.364:
	s_or_b32 exec_lo, exec_lo, s7
	v_lshrrev_b32_e32 v2, 24, v2
	v_and_or_b32 v2, 0x80, v2, v3
	global_store_byte v[4:5], v2, off
.LBB11_365:
	s_mov_b32 s7, 0
.LBB11_366:
	s_andn2_b32 vcc_lo, exec_lo, s7
	s_cbranch_vccnz .LBB11_376
; %bb.367:
	v_cvt_f32_f64_e32 v2, v[0:1]
	s_mov_b32 s7, exec_lo
                                        ; implicit-def: $vgpr3
	v_and_b32_e32 v6, 0x7fffffff, v2
	v_cmpx_gt_u32_e32 0x47800000, v6
	s_xor_b32 s7, exec_lo, s7
	s_cbranch_execz .LBB11_373
; %bb.368:
	s_mov_b32 s8, exec_lo
                                        ; implicit-def: $vgpr3
	v_cmpx_lt_u32_e32 0x387fffff, v6
	s_xor_b32 s8, exec_lo, s8
; %bb.369:
	v_bfe_u32 v3, v2, 21, 1
	v_add3_u32 v3, v2, v3, 0x80fffff
	v_lshrrev_b32_e32 v3, 21, v3
; %bb.370:
	s_andn2_saveexec_b32 s8, s8
; %bb.371:
	v_add_f32_e64 v3, 0x43000000, |v2|
; %bb.372:
	s_or_b32 exec_lo, exec_lo, s8
                                        ; implicit-def: $vgpr6
.LBB11_373:
	s_andn2_saveexec_b32 s7, s7
; %bb.374:
	v_mov_b32_e32 v3, 0x7f
	v_cmp_lt_u32_e32 vcc_lo, 0x7f800000, v6
	v_cndmask_b32_e32 v3, 0x7c, v3, vcc_lo
; %bb.375:
	s_or_b32 exec_lo, exec_lo, s7
	v_lshrrev_b32_e32 v2, 24, v2
	v_and_or_b32 v2, 0x80, v2, v3
	global_store_byte v[4:5], v2, off
.LBB11_376:
	s_mov_b32 s8, 0
	s_mov_b32 s7, -1
.LBB11_377:
	s_andn2_b32 vcc_lo, exec_lo, s8
	s_cbranch_vccnz .LBB11_385
; %bb.378:
	s_cmp_gt_i32 s6, 14
	s_mov_b32 s8, -1
	s_cbranch_scc0 .LBB11_382
; %bb.379:
	s_cmp_eq_u32 s6, 15
	s_mov_b32 s4, -1
	s_cbranch_scc0 .LBB11_381
; %bb.380:
	v_cvt_f32_f64_e32 v2, v[0:1]
	s_mov_b32 s7, -1
	s_mov_b32 s4, 0
	v_bfe_u32 v3, v2, 16, 1
	v_cmp_o_f32_e32 vcc_lo, v2, v2
	v_add3_u32 v2, v2, v3, 0x7fff
	v_mov_b32_e32 v3, 0x7fc0
	v_cndmask_b32_sdwa v2, v3, v2, vcc_lo dst_sel:DWORD dst_unused:UNUSED_PAD src0_sel:DWORD src1_sel:WORD_1
	global_store_short v[4:5], v2, off
.LBB11_381:
	s_mov_b32 s8, 0
.LBB11_382:
	s_and_b32 vcc_lo, exec_lo, s8
	s_cbranch_vccz .LBB11_385
; %bb.383:
	s_cmp_eq_u32 s6, 11
	s_mov_b32 s4, -1
	s_cbranch_scc0 .LBB11_385
; %bb.384:
	v_cmp_neq_f64_e32 vcc_lo, 0, v[0:1]
	s_mov_b32 s7, -1
	s_mov_b32 s4, 0
	v_cndmask_b32_e64 v2, 0, 1, vcc_lo
	global_store_byte v[4:5], v2, off
.LBB11_385:
	s_mov_b32 s6, 0
.LBB11_386:
	s_and_b32 vcc_lo, exec_lo, s6
	s_cbranch_vccz .LBB11_425
; %bb.387:
	s_and_b32 s5, 0xffff, s5
	s_mov_b32 s6, -1
	s_cmp_lt_i32 s5, 5
	s_cbranch_scc1 .LBB11_408
; %bb.388:
	s_cmp_lt_i32 s5, 8
	s_cbranch_scc1 .LBB11_398
; %bb.389:
	;; [unrolled: 3-line block ×3, first 2 shown]
	s_cmp_gt_i32 s5, 9
	s_cbranch_scc0 .LBB11_392
; %bb.391:
	v_mov_b32_e32 v2, 0
	s_mov_b32 s6, 0
	v_mov_b32_e32 v3, v2
	global_store_dwordx4 v[4:5], v[0:3], off
.LBB11_392:
	s_andn2_b32 vcc_lo, exec_lo, s6
	s_cbranch_vccnz .LBB11_394
; %bb.393:
	v_cvt_f32_f64_e32 v2, v[0:1]
	v_mov_b32_e32 v3, 0
	global_store_dwordx2 v[4:5], v[2:3], off
.LBB11_394:
	s_mov_b32 s6, 0
.LBB11_395:
	s_andn2_b32 vcc_lo, exec_lo, s6
	s_cbranch_vccnz .LBB11_397
; %bb.396:
	v_and_or_b32 v2, 0x1ff, v1, v0
	v_lshrrev_b32_e32 v3, 8, v1
	v_bfe_u32 v6, v1, 20, 11
	v_cmp_ne_u32_e32 vcc_lo, 0, v2
	v_sub_nc_u32_e32 v7, 0x3f1, v6
	v_add_nc_u32_e32 v6, 0xfffffc10, v6
	v_cndmask_b32_e64 v2, 0, 1, vcc_lo
	v_and_or_b32 v2, 0xffe, v3, v2
	v_med3_i32 v3, v7, 0, 13
	v_or_b32_e32 v7, 0x1000, v2
	v_lshrrev_b32_e32 v8, v3, v7
	v_lshlrev_b32_e32 v3, v3, v8
	v_cmp_ne_u32_e32 vcc_lo, v3, v7
	v_lshl_or_b32 v7, v6, 12, v2
	v_cndmask_b32_e64 v3, 0, 1, vcc_lo
	v_cmp_gt_i32_e32 vcc_lo, 1, v6
	v_or_b32_e32 v3, v8, v3
	v_cndmask_b32_e32 v3, v7, v3, vcc_lo
	v_and_b32_e32 v7, 7, v3
	v_lshrrev_b32_e32 v3, 2, v3
	v_cmp_lt_i32_e32 vcc_lo, 5, v7
	v_cndmask_b32_e64 v8, 0, 1, vcc_lo
	v_cmp_eq_u32_e32 vcc_lo, 3, v7
	v_cndmask_b32_e64 v7, 0, 1, vcc_lo
	v_cmp_ne_u32_e32 vcc_lo, 0, v2
	v_or_b32_e32 v7, v7, v8
	v_mov_b32_e32 v8, 0x7e00
	v_add_nc_u32_e32 v3, v3, v7
	v_cndmask_b32_e32 v2, 0x7c00, v8, vcc_lo
	v_cmp_gt_i32_e32 vcc_lo, 31, v6
	v_cndmask_b32_e32 v3, 0x7c00, v3, vcc_lo
	v_cmp_eq_u32_e32 vcc_lo, 0x40f, v6
	v_cndmask_b32_e32 v2, v3, v2, vcc_lo
	v_lshrrev_b32_e32 v3, 16, v1
	v_and_or_b32 v2, 0x8000, v3, v2
	v_and_b32_e32 v2, 0xffff, v2
	global_store_dword v[4:5], v2, off
.LBB11_397:
	s_mov_b32 s6, 0
.LBB11_398:
	s_andn2_b32 vcc_lo, exec_lo, s6
	s_cbranch_vccnz .LBB11_407
; %bb.399:
	s_cmp_lt_i32 s5, 6
	s_mov_b32 s6, -1
	s_cbranch_scc1 .LBB11_405
; %bb.400:
	s_cmp_gt_i32 s5, 6
	s_cbranch_scc0 .LBB11_402
; %bb.401:
	s_mov_b32 s6, 0
	global_store_dwordx2 v[4:5], v[0:1], off
.LBB11_402:
	s_andn2_b32 vcc_lo, exec_lo, s6
	s_cbranch_vccnz .LBB11_404
; %bb.403:
	v_cvt_f32_f64_e32 v2, v[0:1]
	global_store_dword v[4:5], v2, off
.LBB11_404:
	s_mov_b32 s6, 0
.LBB11_405:
	s_andn2_b32 vcc_lo, exec_lo, s6
	s_cbranch_vccnz .LBB11_407
; %bb.406:
	v_and_or_b32 v2, 0x1ff, v1, v0
	v_lshrrev_b32_e32 v3, 8, v1
	v_bfe_u32 v6, v1, 20, 11
	v_cmp_ne_u32_e32 vcc_lo, 0, v2
	v_sub_nc_u32_e32 v7, 0x3f1, v6
	v_add_nc_u32_e32 v6, 0xfffffc10, v6
	v_cndmask_b32_e64 v2, 0, 1, vcc_lo
	v_and_or_b32 v2, 0xffe, v3, v2
	v_med3_i32 v3, v7, 0, 13
	v_or_b32_e32 v7, 0x1000, v2
	v_lshrrev_b32_e32 v8, v3, v7
	v_lshlrev_b32_e32 v3, v3, v8
	v_cmp_ne_u32_e32 vcc_lo, v3, v7
	v_lshl_or_b32 v7, v6, 12, v2
	v_cndmask_b32_e64 v3, 0, 1, vcc_lo
	v_cmp_gt_i32_e32 vcc_lo, 1, v6
	v_or_b32_e32 v3, v8, v3
	v_cndmask_b32_e32 v3, v7, v3, vcc_lo
	v_and_b32_e32 v7, 7, v3
	v_lshrrev_b32_e32 v3, 2, v3
	v_cmp_lt_i32_e32 vcc_lo, 5, v7
	v_cndmask_b32_e64 v8, 0, 1, vcc_lo
	v_cmp_eq_u32_e32 vcc_lo, 3, v7
	v_cndmask_b32_e64 v7, 0, 1, vcc_lo
	v_cmp_ne_u32_e32 vcc_lo, 0, v2
	v_or_b32_e32 v7, v7, v8
	v_mov_b32_e32 v8, 0x7e00
	v_add_nc_u32_e32 v3, v3, v7
	v_cndmask_b32_e32 v2, 0x7c00, v8, vcc_lo
	v_cmp_gt_i32_e32 vcc_lo, 31, v6
	v_cndmask_b32_e32 v3, 0x7c00, v3, vcc_lo
	v_cmp_eq_u32_e32 vcc_lo, 0x40f, v6
	v_cndmask_b32_e32 v2, v3, v2, vcc_lo
	v_lshrrev_b32_e32 v3, 16, v1
	v_and_or_b32 v2, 0x8000, v3, v2
	global_store_short v[4:5], v2, off
.LBB11_407:
	s_mov_b32 s6, 0
.LBB11_408:
	s_andn2_b32 vcc_lo, exec_lo, s6
	s_cbranch_vccnz .LBB11_424
; %bb.409:
	s_cmp_lt_i32 s5, 2
	s_mov_b32 s6, -1
	s_cbranch_scc1 .LBB11_419
; %bb.410:
	s_cmp_lt_i32 s5, 3
	s_cbranch_scc1 .LBB11_416
; %bb.411:
	s_cmp_gt_i32 s5, 3
	s_cbranch_scc0 .LBB11_413
; %bb.412:
	v_trunc_f64_e32 v[2:3], v[0:1]
	s_mov_b32 s6, 0
	v_ldexp_f64 v[6:7], v[2:3], 0xffffffe0
	v_floor_f64_e32 v[6:7], v[6:7]
	v_fma_f64 v[2:3], 0xc1f00000, v[6:7], v[2:3]
	v_cvt_i32_f64_e32 v7, v[6:7]
	v_cvt_u32_f64_e32 v6, v[2:3]
	global_store_dwordx2 v[4:5], v[6:7], off
.LBB11_413:
	s_andn2_b32 vcc_lo, exec_lo, s6
	s_cbranch_vccnz .LBB11_415
; %bb.414:
	v_cvt_i32_f64_e32 v2, v[0:1]
	global_store_dword v[4:5], v2, off
.LBB11_415:
	s_mov_b32 s6, 0
.LBB11_416:
	s_andn2_b32 vcc_lo, exec_lo, s6
	s_cbranch_vccnz .LBB11_418
; %bb.417:
	v_cvt_i32_f64_e32 v2, v[0:1]
	global_store_short v[4:5], v2, off
.LBB11_418:
	s_mov_b32 s6, 0
.LBB11_419:
	s_andn2_b32 vcc_lo, exec_lo, s6
	s_cbranch_vccnz .LBB11_424
; %bb.420:
	s_cmp_gt_i32 s5, 0
	s_mov_b32 s5, -1
	s_cbranch_scc0 .LBB11_422
; %bb.421:
	v_cvt_i32_f64_e32 v2, v[0:1]
	s_mov_b32 s5, 0
	global_store_byte v[4:5], v2, off
.LBB11_422:
	s_andn2_b32 vcc_lo, exec_lo, s5
	s_cbranch_vccnz .LBB11_424
; %bb.423:
	v_trunc_f64_e32 v[0:1], v[0:1]
	v_ldexp_f64 v[2:3], v[0:1], 0xffffffe0
	v_floor_f64_e32 v[2:3], v[2:3]
	v_fma_f64 v[0:1], 0xc1f00000, v[2:3], v[0:1]
	v_cvt_u32_f64_e32 v0, v[0:1]
	global_store_byte v[4:5], v0, off
.LBB11_424:
	s_mov_b32 s7, -1
.LBB11_425:
	s_andn2_b32 vcc_lo, exec_lo, s7
	s_cbranch_vccnz .LBB11_427
; %bb.426:
	v_add_nc_u32_e32 v43, 0x80, v43
	s_mov_b32 s5, -1
	s_branch .LBB11_428
.LBB11_427:
	s_mov_b32 s5, 0
                                        ; implicit-def: $vgpr43
.LBB11_428:
	s_andn2_b32 s6, s61, exec_lo
	s_and_b32 s4, s4, exec_lo
	s_orn2_b32 s7, s5, exec_lo
	s_or_b32 s64, s6, s4
.LBB11_429:
	s_or_b32 exec_lo, exec_lo, s63
	s_mov_b32 s4, 0
	s_mov_b32 s6, 0
                                        ; implicit-def: $sgpr5
                                        ; implicit-def: $vgpr4_vgpr5
                                        ; implicit-def: $vgpr0_vgpr1
	s_and_saveexec_b32 s63, s7
	s_cbranch_execz .LBB11_528
; %bb.430:
	v_cmp_gt_i32_e32 vcc_lo, s56, v43
	s_mov_b32 s7, s64
                                        ; implicit-def: $sgpr5
                                        ; implicit-def: $vgpr4_vgpr5
                                        ; implicit-def: $vgpr0_vgpr1
	s_and_saveexec_b32 s56, vcc_lo
	s_cbranch_execz .LBB11_527
; %bb.431:
	s_andn2_b32 vcc_lo, exec_lo, s52
	s_cbranch_vccnz .LBB11_436
; %bb.432:
	s_andn2_b32 vcc_lo, exec_lo, s58
	s_cbranch_vccnz .LBB11_437
; %bb.433:
	s_add_i32 s57, s57, 1
	s_cmp_eq_u32 s50, 2
	s_cbranch_scc1 .LBB11_438
; %bb.434:
	v_mov_b32_e32 v2, 0
	v_mov_b32_e32 v41, 0
	;; [unrolled: 1-line block ×3, first 2 shown]
	s_and_b32 s6, s57, 28
	s_mov_b32 s7, 0
	s_mov_b64 s[4:5], s[28:29]
.LBB11_435:                             ; =>This Inner Loop Header: Depth=1
	s_clause 0x1
	s_load_dwordx8 s[8:15], s[4:5], 0x4
	s_load_dwordx4 s[68:71], s[4:5], 0x24
	s_load_dwordx8 s[16:23], s[48:49], 0x0
	s_add_u32 s4, s4, 48
	s_addc_u32 s5, s5, 0
	s_add_i32 s7, s7, 4
	s_add_u32 s48, s48, 32
	s_addc_u32 s49, s49, 0
	s_cmp_eq_u32 s6, s7
	s_waitcnt lgkmcnt(0)
	v_mul_hi_u32 v1, s9, v0
	v_add_nc_u32_e32 v1, v0, v1
	v_lshrrev_b32_e32 v1, s10, v1
	v_mul_hi_u32 v3, s12, v1
	v_mul_lo_u32 v5, v1, s8
	v_add_nc_u32_e32 v3, v1, v3
	v_sub_nc_u32_e32 v0, v0, v5
	v_lshrrev_b32_e32 v3, s13, v3
	v_mul_lo_u32 v5, v0, s16
	v_mul_lo_u32 v7, v0, s17
	v_mul_hi_u32 v4, s15, v3
	v_add_nc_u32_e32 v4, v3, v4
	v_lshrrev_b32_e32 v4, s68, v4
	v_mul_hi_u32 v6, s70, v4
	v_mul_lo_u32 v8, v4, s14
	v_add_nc_u32_e32 v0, v4, v6
	v_mul_lo_u32 v6, v3, s11
	v_sub_nc_u32_e32 v3, v3, v8
	v_lshrrev_b32_e32 v0, s71, v0
	v_mul_lo_u32 v8, v3, s20
	v_mul_lo_u32 v3, v3, s21
	v_sub_nc_u32_e32 v1, v1, v6
	v_mul_lo_u32 v9, v0, s69
	v_mul_lo_u32 v6, v1, s18
	;; [unrolled: 1-line block ×3, first 2 shown]
	v_sub_nc_u32_e32 v4, v4, v9
	v_add3_u32 v5, v5, v41, v6
	v_mul_lo_u32 v9, v4, s22
	v_mul_lo_u32 v4, v4, s23
	v_add3_u32 v1, v7, v2, v1
	v_add3_u32 v41, v8, v5, v9
	;; [unrolled: 1-line block ×3, first 2 shown]
	s_cbranch_scc0 .LBB11_435
	s_branch .LBB11_439
.LBB11_436:
	s_mov_b32 s4, -1
                                        ; implicit-def: $vgpr41
                                        ; implicit-def: $vgpr2
	s_branch .LBB11_443
.LBB11_437:
	v_mov_b32_e32 v41, 0
	v_mov_b32_e32 v2, 0
	s_branch .LBB11_442
.LBB11_438:
	v_mov_b32_e32 v41, 0
	v_mov_b32_e32 v2, 0
	;; [unrolled: 1-line block ×3, first 2 shown]
.LBB11_439:
	s_and_b32 s8, s57, 3
	s_cmp_eq_u32 s8, 0
	s_cbranch_scc1 .LBB11_442
; %bb.440:
	s_lshl_b32 s4, s6, 3
	s_mul_i32 s6, s6, 12
	s_add_u32 s4, s28, s4
	s_addc_u32 s5, s29, 0
	s_add_u32 s4, s4, 0xc4
	s_addc_u32 s5, s5, 0
	;; [unrolled: 2-line block ×3, first 2 shown]
.LBB11_441:                             ; =>This Inner Loop Header: Depth=1
	s_clause 0x1
	s_load_dwordx2 s[10:11], s[6:7], 0x4
	s_load_dword s9, s[6:7], 0xc
	s_load_dwordx2 s[12:13], s[4:5], 0x0
	s_add_u32 s6, s6, 12
	s_addc_u32 s7, s7, 0
	s_add_u32 s4, s4, 8
	s_addc_u32 s5, s5, 0
	s_add_i32 s8, s8, -1
	s_cmp_lg_u32 s8, 0
	s_waitcnt lgkmcnt(0)
	v_mul_hi_u32 v1, s11, v0
	v_add_nc_u32_e32 v1, v0, v1
	v_lshrrev_b32_e32 v1, s9, v1
	v_mul_lo_u32 v3, v1, s10
	v_sub_nc_u32_e32 v0, v0, v3
	v_mad_u64_u32 v[41:42], null, v0, s12, v[41:42]
	v_mad_u64_u32 v[2:3], null, v0, s13, v[2:3]
	v_mov_b32_e32 v0, v1
	s_cbranch_scc1 .LBB11_441
.LBB11_442:
	s_mov_b32 s4, 0
.LBB11_443:
	s_andn2_b32 vcc_lo, exec_lo, s4
	s_cbranch_vccnz .LBB11_446
; %bb.444:
	s_waitcnt lgkmcnt(0)
	v_mul_hi_u32 v0, s45, v43
	s_andn2_b32 vcc_lo, exec_lo, s55
	v_add_nc_u32_e32 v0, v43, v0
	v_lshrrev_b32_e32 v0, s46, v0
	v_mul_lo_u32 v1, v0, s44
	v_sub_nc_u32_e32 v1, v43, v1
	v_mul_lo_u32 v41, v1, s40
	v_mul_lo_u32 v2, v1, s41
	s_cbranch_vccnz .LBB11_446
; %bb.445:
	v_mul_hi_u32 v1, s34, v0
	v_add_nc_u32_e32 v1, v0, v1
	v_lshrrev_b32_e32 v1, s35, v1
	v_mul_lo_u32 v1, v1, s47
	v_sub_nc_u32_e32 v0, v0, v1
	v_mad_u64_u32 v[41:42], null, v0, s42, v[41:42]
	v_mad_u64_u32 v[2:3], null, v0, s43, v[2:3]
.LBB11_446:
	s_waitcnt lgkmcnt(0)
	v_mov_b32_e32 v0, s38
	v_mov_b32_e32 v1, s39
	;; [unrolled: 1-line block ×3, first 2 shown]
	s_getpc_b64 s[4:5]
	s_add_u32 s4, s4, _ZN2at6native6invokeIZZZNS0_12_GLOBAL__N_121bessel_y1_kernel_cudaERNS_18TensorIteratorBaseEENKUlvE_clEvENKUlvE_clEvEUldE_j15function_traitsIS7_EEENT1_11result_typeERKT_PrKPcPKT0_PKN3c1010ScalarTypeEi@rel32@lo+4
	s_addc_u32 s5, s5, _ZN2at6native6invokeIZZZNS0_12_GLOBAL__N_121bessel_y1_kernel_cudaERNS_18TensorIteratorBaseEENKUlvE_clEvENKUlvE_clEvEUldE_j15function_traitsIS7_EEENT1_11result_typeERKT_PrKPcPKT0_PKN3c1010ScalarTypeEi@rel32@hi+12
	s_swappc_b64 s[30:31], s[4:5]
	v_add_co_u32 v4, s4, s36, v41
	v_add_co_ci_u32_e64 v5, null, s37, 0, s4
	s_and_b32 s5, s54, 0xff
	s_cmp_lt_i32 s5, 11
	s_cbranch_scc1 .LBB11_453
; %bb.447:
	s_and_b32 s6, 0xffff, s5
	s_mov_b32 s7, -1
	s_cmp_gt_i32 s6, 25
	s_mov_b32 s4, s64
	s_cbranch_scc0 .LBB11_485
; %bb.448:
	s_cmp_gt_i32 s6, 28
	s_mov_b32 s4, s64
	s_cbranch_scc0 .LBB11_469
; %bb.449:
	;; [unrolled: 4-line block ×4, first 2 shown]
	s_cmp_eq_u32 s6, 46
	s_mov_b32 s4, -1
	s_cbranch_scc0 .LBB11_458
; %bb.452:
	v_cvt_f32_f64_e32 v2, v[0:1]
	s_mov_b32 s4, 0
	s_mov_b32 s7, 0
	v_bfe_u32 v3, v2, 16, 1
	v_cmp_o_f32_e32 vcc_lo, v2, v2
	v_add3_u32 v2, v2, v3, 0x7fff
	v_mov_b32_e32 v3, 0x7fc0
	v_cndmask_b32_sdwa v2, v3, v2, vcc_lo dst_sel:DWORD dst_unused:UNUSED_PAD src0_sel:DWORD src1_sel:WORD_1
	global_store_dword v[4:5], v2, off
	s_branch .LBB11_459
.LBB11_453:
	s_mov_b32 s8, 0
	s_mov_b32 s7, -1
	s_mov_b32 s4, s64
	s_branch .LBB11_526
.LBB11_454:
	s_andn2_saveexec_b32 s9, s9
	s_cbranch_execz .LBB11_338
.LBB11_455:
	v_add_f32_e64 v3, 0x46000000, |v2|
	s_andn2_b32 s8, s8, exec_lo
	v_and_b32_e32 v3, 0xff, v3
	v_cmp_ne_u32_e32 vcc_lo, 0, v3
	s_and_b32 s10, vcc_lo, exec_lo
	s_or_b32 s8, s8, s10
	s_or_b32 exec_lo, exec_lo, s9
	v_mov_b32_e32 v6, 0
	s_and_saveexec_b32 s9, s8
	s_cbranch_execnz .LBB11_339
	s_branch .LBB11_340
.LBB11_456:
	s_andn2_saveexec_b32 s9, s9
	s_cbranch_execz .LBB11_351
.LBB11_457:
	v_add_f32_e64 v3, 0x42800000, |v2|
	s_andn2_b32 s8, s8, exec_lo
	v_and_b32_e32 v3, 0xff, v3
	v_cmp_ne_u32_e32 vcc_lo, 0, v3
	s_and_b32 s10, vcc_lo, exec_lo
	s_or_b32 s8, s8, s10
	s_or_b32 exec_lo, exec_lo, s9
	v_mov_b32_e32 v6, 0
	s_and_saveexec_b32 s9, s8
	s_cbranch_execnz .LBB11_352
	s_branch .LBB11_353
.LBB11_458:
	s_mov_b32 s7, 0
.LBB11_459:
	s_and_b32 vcc_lo, exec_lo, s7
	s_cbranch_vccz .LBB11_464
; %bb.460:
	s_cmp_eq_u32 s6, 44
	s_mov_b32 s4, -1
	s_cbranch_scc0 .LBB11_464
; %bb.461:
	v_cvt_f32_f64_e32 v2, v[0:1]
	v_mov_b32_e32 v3, 0xff
	s_mov_b32 s7, exec_lo
	v_bfe_u32 v6, v2, 23, 8
	v_cmpx_ne_u32_e32 0xff, v6
	s_cbranch_execz .LBB11_463
; %bb.462:
	v_and_b32_e32 v3, 0x400000, v2
	v_and_or_b32 v6, 0x3fffff, v2, v6
	v_lshrrev_b32_e32 v2, 23, v2
	v_cmp_ne_u32_e32 vcc_lo, 0, v3
	v_cmp_ne_u32_e64 s4, 0, v6
	s_and_b32 s4, vcc_lo, s4
	v_cndmask_b32_e64 v3, 0, 1, s4
	v_add_nc_u32_e32 v3, v2, v3
.LBB11_463:
	s_or_b32 exec_lo, exec_lo, s7
	s_mov_b32 s4, 0
	global_store_byte v[4:5], v3, off
.LBB11_464:
	s_mov_b32 s7, 0
.LBB11_465:
	s_and_b32 vcc_lo, exec_lo, s7
	s_cbranch_vccz .LBB11_468
; %bb.466:
	s_cmp_eq_u32 s6, 29
	s_mov_b32 s4, -1
	s_cbranch_scc0 .LBB11_468
; %bb.467:
	v_trunc_f64_e32 v[2:3], v[0:1]
	s_mov_b32 s4, 0
	s_mov_b32 s7, 0
	v_ldexp_f64 v[6:7], v[2:3], 0xffffffe0
	v_floor_f64_e32 v[6:7], v[6:7]
	v_fma_f64 v[2:3], 0xc1f00000, v[6:7], v[2:3]
	v_cvt_u32_f64_e32 v7, v[6:7]
	v_cvt_u32_f64_e32 v6, v[2:3]
	global_store_dwordx2 v[4:5], v[6:7], off
	s_branch .LBB11_469
.LBB11_468:
	s_mov_b32 s7, 0
.LBB11_469:
	s_and_b32 vcc_lo, exec_lo, s7
	s_cbranch_vccz .LBB11_484
; %bb.470:
	s_cmp_lt_i32 s6, 27
	s_mov_b32 s7, -1
	s_cbranch_scc1 .LBB11_476
; %bb.471:
	v_cvt_u32_f64_e32 v2, v[0:1]
	s_cmp_gt_i32 s6, 27
	s_cbranch_scc0 .LBB11_473
; %bb.472:
	s_mov_b32 s7, 0
	global_store_dword v[4:5], v2, off
.LBB11_473:
	s_andn2_b32 vcc_lo, exec_lo, s7
	s_cbranch_vccnz .LBB11_475
; %bb.474:
	global_store_short v[4:5], v2, off
.LBB11_475:
	s_mov_b32 s7, 0
.LBB11_476:
	s_andn2_b32 vcc_lo, exec_lo, s7
	s_cbranch_vccnz .LBB11_484
; %bb.477:
	v_cvt_f32_f64_e32 v2, v[0:1]
	v_mov_b32_e32 v6, 0x80
	s_mov_b32 s7, exec_lo
	v_and_b32_e32 v3, 0x7fffffff, v2
	v_cmpx_gt_u32_e32 0x43800000, v3
	s_cbranch_execz .LBB11_483
; %bb.478:
	v_cmp_lt_u32_e32 vcc_lo, 0x3bffffff, v3
	s_mov_b32 s8, 0
                                        ; implicit-def: $vgpr3
	s_and_saveexec_b32 s9, vcc_lo
	s_xor_b32 s9, exec_lo, s9
	s_cbranch_execz .LBB11_1121
; %bb.479:
	v_bfe_u32 v3, v2, 20, 1
	s_mov_b32 s8, exec_lo
	v_add3_u32 v3, v2, v3, 0x487ffff
	v_lshrrev_b32_e32 v3, 20, v3
	s_andn2_saveexec_b32 s9, s9
	s_cbranch_execnz .LBB11_1122
.LBB11_480:
	s_or_b32 exec_lo, exec_lo, s9
	v_mov_b32_e32 v6, 0
	s_and_saveexec_b32 s9, s8
.LBB11_481:
	v_lshrrev_b32_e32 v2, 24, v2
	v_and_or_b32 v6, 0x80, v2, v3
.LBB11_482:
	s_or_b32 exec_lo, exec_lo, s9
.LBB11_483:
	s_or_b32 exec_lo, exec_lo, s7
	global_store_byte v[4:5], v6, off
.LBB11_484:
	s_mov_b32 s7, 0
.LBB11_485:
	s_and_b32 vcc_lo, exec_lo, s7
	s_mov_b32 s7, 0
	s_cbranch_vccz .LBB11_525
; %bb.486:
	s_cmp_gt_i32 s6, 22
	s_mov_b32 s8, -1
	s_cbranch_scc0 .LBB11_518
; %bb.487:
	s_cmp_lt_i32 s6, 24
	s_cbranch_scc1 .LBB11_507
; %bb.488:
	s_cmp_gt_i32 s6, 24
	s_cbranch_scc0 .LBB11_496
; %bb.489:
	v_cvt_f32_f64_e32 v2, v[0:1]
	v_mov_b32_e32 v6, 0x80
	s_mov_b32 s8, exec_lo
	v_and_b32_e32 v3, 0x7fffffff, v2
	v_cmpx_gt_u32_e32 0x47800000, v3
	s_cbranch_execz .LBB11_495
; %bb.490:
	v_cmp_lt_u32_e32 vcc_lo, 0x37ffffff, v3
	s_mov_b32 s9, 0
                                        ; implicit-def: $vgpr3
	s_and_saveexec_b32 s10, vcc_lo
	s_xor_b32 s10, exec_lo, s10
	s_cbranch_execz .LBB11_1125
; %bb.491:
	v_bfe_u32 v3, v2, 21, 1
	s_mov_b32 s9, exec_lo
	v_add3_u32 v3, v2, v3, 0x88fffff
	v_lshrrev_b32_e32 v3, 21, v3
	s_andn2_saveexec_b32 s10, s10
	s_cbranch_execnz .LBB11_1126
.LBB11_492:
	s_or_b32 exec_lo, exec_lo, s10
	v_mov_b32_e32 v6, 0
	s_and_saveexec_b32 s10, s9
.LBB11_493:
	v_lshrrev_b32_e32 v2, 24, v2
	v_and_or_b32 v6, 0x80, v2, v3
.LBB11_494:
	s_or_b32 exec_lo, exec_lo, s10
.LBB11_495:
	s_or_b32 exec_lo, exec_lo, s8
	s_mov_b32 s8, 0
	global_store_byte v[4:5], v6, off
.LBB11_496:
	s_and_b32 vcc_lo, exec_lo, s8
	s_cbranch_vccz .LBB11_506
; %bb.497:
	v_cvt_f32_f64_e32 v2, v[0:1]
	s_mov_b32 s8, exec_lo
                                        ; implicit-def: $vgpr3
	v_and_b32_e32 v6, 0x7fffffff, v2
	v_cmpx_gt_u32_e32 0x43f00000, v6
	s_xor_b32 s8, exec_lo, s8
	s_cbranch_execz .LBB11_503
; %bb.498:
	s_mov_b32 s9, exec_lo
                                        ; implicit-def: $vgpr3
	v_cmpx_lt_u32_e32 0x3c7fffff, v6
	s_xor_b32 s9, exec_lo, s9
; %bb.499:
	v_bfe_u32 v3, v2, 20, 1
	v_add3_u32 v3, v2, v3, 0x407ffff
	v_and_b32_e32 v6, 0xff00000, v3
	v_lshrrev_b32_e32 v3, 20, v3
	v_cmp_ne_u32_e32 vcc_lo, 0x7f00000, v6
	v_cndmask_b32_e32 v3, 0x7e, v3, vcc_lo
; %bb.500:
	s_andn2_saveexec_b32 s9, s9
; %bb.501:
	v_add_f32_e64 v3, 0x46800000, |v2|
; %bb.502:
	s_or_b32 exec_lo, exec_lo, s9
                                        ; implicit-def: $vgpr6
.LBB11_503:
	s_andn2_saveexec_b32 s8, s8
; %bb.504:
	v_mov_b32_e32 v3, 0x7f
	v_cmp_lt_u32_e32 vcc_lo, 0x7f800000, v6
	v_cndmask_b32_e32 v3, 0x7e, v3, vcc_lo
; %bb.505:
	s_or_b32 exec_lo, exec_lo, s8
	v_lshrrev_b32_e32 v2, 24, v2
	v_and_or_b32 v2, 0x80, v2, v3
	global_store_byte v[4:5], v2, off
.LBB11_506:
	s_mov_b32 s8, 0
.LBB11_507:
	s_andn2_b32 vcc_lo, exec_lo, s8
	s_cbranch_vccnz .LBB11_517
; %bb.508:
	v_cvt_f32_f64_e32 v2, v[0:1]
	s_mov_b32 s8, exec_lo
                                        ; implicit-def: $vgpr3
	v_and_b32_e32 v6, 0x7fffffff, v2
	v_cmpx_gt_u32_e32 0x47800000, v6
	s_xor_b32 s8, exec_lo, s8
	s_cbranch_execz .LBB11_514
; %bb.509:
	s_mov_b32 s9, exec_lo
                                        ; implicit-def: $vgpr3
	v_cmpx_lt_u32_e32 0x387fffff, v6
	s_xor_b32 s9, exec_lo, s9
; %bb.510:
	v_bfe_u32 v3, v2, 21, 1
	v_add3_u32 v3, v2, v3, 0x80fffff
	v_lshrrev_b32_e32 v3, 21, v3
; %bb.511:
	s_andn2_saveexec_b32 s9, s9
; %bb.512:
	v_add_f32_e64 v3, 0x43000000, |v2|
; %bb.513:
	s_or_b32 exec_lo, exec_lo, s9
                                        ; implicit-def: $vgpr6
.LBB11_514:
	s_andn2_saveexec_b32 s8, s8
; %bb.515:
	v_mov_b32_e32 v3, 0x7f
	v_cmp_lt_u32_e32 vcc_lo, 0x7f800000, v6
	v_cndmask_b32_e32 v3, 0x7c, v3, vcc_lo
; %bb.516:
	s_or_b32 exec_lo, exec_lo, s8
	v_lshrrev_b32_e32 v2, 24, v2
	v_and_or_b32 v2, 0x80, v2, v3
	global_store_byte v[4:5], v2, off
.LBB11_517:
	s_mov_b32 s8, 0
.LBB11_518:
	s_andn2_b32 vcc_lo, exec_lo, s8
	s_mov_b32 s8, 0
	s_cbranch_vccnz .LBB11_526
; %bb.519:
	s_cmp_gt_i32 s6, 14
	s_mov_b32 s8, -1
	s_cbranch_scc0 .LBB11_523
; %bb.520:
	s_cmp_eq_u32 s6, 15
	s_mov_b32 s4, -1
	s_cbranch_scc0 .LBB11_522
; %bb.521:
	v_cvt_f32_f64_e32 v2, v[0:1]
	s_mov_b32 s4, 0
	v_bfe_u32 v3, v2, 16, 1
	v_cmp_o_f32_e32 vcc_lo, v2, v2
	v_add3_u32 v2, v2, v3, 0x7fff
	v_mov_b32_e32 v3, 0x7fc0
	v_cndmask_b32_sdwa v2, v3, v2, vcc_lo dst_sel:DWORD dst_unused:UNUSED_PAD src0_sel:DWORD src1_sel:WORD_1
	global_store_short v[4:5], v2, off
.LBB11_522:
	s_mov_b32 s8, 0
.LBB11_523:
	s_and_b32 vcc_lo, exec_lo, s8
	s_mov_b32 s8, 0
	s_cbranch_vccz .LBB11_526
; %bb.524:
	s_cmp_lg_u32 s6, 11
	s_mov_b32 s8, -1
	s_cselect_b32 s6, -1, 0
	s_andn2_b32 s4, s4, exec_lo
	s_and_b32 s6, s6, exec_lo
	s_or_b32 s4, s4, s6
	s_branch .LBB11_526
.LBB11_525:
	s_mov_b32 s8, 0
.LBB11_526:
	s_and_b32 s6, s7, exec_lo
	s_andn2_b32 s7, s64, exec_lo
	s_and_b32 s9, s4, exec_lo
	s_and_b32 s4, s8, exec_lo
	s_or_b32 s7, s7, s9
.LBB11_527:
	s_or_b32 exec_lo, exec_lo, s56
	s_andn2_b32 s8, s64, exec_lo
	s_and_b32 s7, s7, exec_lo
	s_and_b32 s6, s6, exec_lo
	;; [unrolled: 1-line block ×3, first 2 shown]
	s_or_b32 s64, s8, s7
.LBB11_528:
	s_or_b32 exec_lo, exec_lo, s63
	s_andn2_b32 s7, s61, exec_lo
	s_and_b32 s8, s64, exec_lo
	s_and_b32 s6, s6, exec_lo
	;; [unrolled: 1-line block ×3, first 2 shown]
	s_or_b32 s61, s7, s8
.LBB11_529:
	s_or_b32 exec_lo, exec_lo, s62
	s_andn2_b32 s7, s59, exec_lo
	s_and_b32 s8, s61, exec_lo
	s_and_b32 s6, s6, exec_lo
	;; [unrolled: 1-line block ×3, first 2 shown]
	s_or_b32 s59, s7, s8
	s_or_b32 exec_lo, exec_lo, s60
	s_mov_b32 s4, 0
	s_and_saveexec_b32 s7, s59
	s_cbranch_execz .LBB11_146
.LBB11_530:
	s_mov_b32 s4, exec_lo
	s_andn2_b32 s61, s61, exec_lo
	s_trap 2
	s_or_b32 exec_lo, exec_lo, s7
	s_and_saveexec_b32 s7, s61
	s_xor_b32 s7, exec_lo, s7
	s_cbranch_execnz .LBB11_147
.LBB11_531:
	s_or_b32 exec_lo, exec_lo, s7
	s_and_saveexec_b32 s7, s6
	s_xor_b32 s6, exec_lo, s7
	s_cbranch_execz .LBB11_569
.LBB11_532:
	s_sext_i32_i16 s8, s5
	s_mov_b32 s7, -1
	s_cmp_lt_i32 s8, 5
	s_cbranch_scc1 .LBB11_553
; %bb.533:
	s_cmp_lt_i32 s8, 8
	s_cbranch_scc1 .LBB11_543
; %bb.534:
	;; [unrolled: 3-line block ×3, first 2 shown]
	s_cmp_gt_i32 s8, 9
	s_cbranch_scc0 .LBB11_537
; %bb.536:
	v_mov_b32_e32 v2, 0
	s_mov_b32 s7, 0
	v_mov_b32_e32 v3, v2
	global_store_dwordx4 v[4:5], v[0:3], off
.LBB11_537:
	s_andn2_b32 vcc_lo, exec_lo, s7
	s_cbranch_vccnz .LBB11_539
; %bb.538:
	v_cvt_f32_f64_e32 v2, v[0:1]
	v_mov_b32_e32 v3, 0
	global_store_dwordx2 v[4:5], v[2:3], off
.LBB11_539:
	s_mov_b32 s7, 0
.LBB11_540:
	s_andn2_b32 vcc_lo, exec_lo, s7
	s_cbranch_vccnz .LBB11_542
; %bb.541:
	v_and_or_b32 v2, 0x1ff, v1, v0
	v_lshrrev_b32_e32 v3, 8, v1
	v_bfe_u32 v6, v1, 20, 11
	v_cmp_ne_u32_e32 vcc_lo, 0, v2
	v_sub_nc_u32_e32 v7, 0x3f1, v6
	v_add_nc_u32_e32 v6, 0xfffffc10, v6
	v_cndmask_b32_e64 v2, 0, 1, vcc_lo
	v_and_or_b32 v2, 0xffe, v3, v2
	v_med3_i32 v3, v7, 0, 13
	v_or_b32_e32 v7, 0x1000, v2
	v_lshrrev_b32_e32 v8, v3, v7
	v_lshlrev_b32_e32 v3, v3, v8
	v_cmp_ne_u32_e32 vcc_lo, v3, v7
	v_lshl_or_b32 v7, v6, 12, v2
	v_cndmask_b32_e64 v3, 0, 1, vcc_lo
	v_cmp_gt_i32_e32 vcc_lo, 1, v6
	v_or_b32_e32 v3, v8, v3
	v_cndmask_b32_e32 v3, v7, v3, vcc_lo
	v_and_b32_e32 v7, 7, v3
	v_lshrrev_b32_e32 v3, 2, v3
	v_cmp_lt_i32_e32 vcc_lo, 5, v7
	v_cndmask_b32_e64 v8, 0, 1, vcc_lo
	v_cmp_eq_u32_e32 vcc_lo, 3, v7
	v_cndmask_b32_e64 v7, 0, 1, vcc_lo
	v_cmp_ne_u32_e32 vcc_lo, 0, v2
	v_or_b32_e32 v7, v7, v8
	v_mov_b32_e32 v8, 0x7e00
	v_add_nc_u32_e32 v3, v3, v7
	v_cndmask_b32_e32 v2, 0x7c00, v8, vcc_lo
	v_cmp_gt_i32_e32 vcc_lo, 31, v6
	v_cndmask_b32_e32 v3, 0x7c00, v3, vcc_lo
	v_cmp_eq_u32_e32 vcc_lo, 0x40f, v6
	v_cndmask_b32_e32 v2, v3, v2, vcc_lo
	v_lshrrev_b32_e32 v3, 16, v1
	v_and_or_b32 v2, 0x8000, v3, v2
	v_and_b32_e32 v2, 0xffff, v2
	global_store_dword v[4:5], v2, off
.LBB11_542:
	s_mov_b32 s7, 0
.LBB11_543:
	s_andn2_b32 vcc_lo, exec_lo, s7
	s_cbranch_vccnz .LBB11_552
; %bb.544:
	s_sext_i32_i16 s8, s5
	s_mov_b32 s7, -1
	s_cmp_lt_i32 s8, 6
	s_cbranch_scc1 .LBB11_550
; %bb.545:
	s_cmp_gt_i32 s8, 6
	s_cbranch_scc0 .LBB11_547
; %bb.546:
	s_mov_b32 s7, 0
	global_store_dwordx2 v[4:5], v[0:1], off
.LBB11_547:
	s_andn2_b32 vcc_lo, exec_lo, s7
	s_cbranch_vccnz .LBB11_549
; %bb.548:
	v_cvt_f32_f64_e32 v2, v[0:1]
	global_store_dword v[4:5], v2, off
.LBB11_549:
	s_mov_b32 s7, 0
.LBB11_550:
	s_andn2_b32 vcc_lo, exec_lo, s7
	s_cbranch_vccnz .LBB11_552
; %bb.551:
	v_and_or_b32 v2, 0x1ff, v1, v0
	v_lshrrev_b32_e32 v3, 8, v1
	v_bfe_u32 v6, v1, 20, 11
	v_cmp_ne_u32_e32 vcc_lo, 0, v2
	v_sub_nc_u32_e32 v7, 0x3f1, v6
	v_add_nc_u32_e32 v6, 0xfffffc10, v6
	v_cndmask_b32_e64 v2, 0, 1, vcc_lo
	v_and_or_b32 v2, 0xffe, v3, v2
	v_med3_i32 v3, v7, 0, 13
	v_or_b32_e32 v7, 0x1000, v2
	v_lshrrev_b32_e32 v8, v3, v7
	v_lshlrev_b32_e32 v3, v3, v8
	v_cmp_ne_u32_e32 vcc_lo, v3, v7
	v_lshl_or_b32 v7, v6, 12, v2
	v_cndmask_b32_e64 v3, 0, 1, vcc_lo
	v_cmp_gt_i32_e32 vcc_lo, 1, v6
	v_or_b32_e32 v3, v8, v3
	v_cndmask_b32_e32 v3, v7, v3, vcc_lo
	v_and_b32_e32 v7, 7, v3
	v_lshrrev_b32_e32 v3, 2, v3
	v_cmp_lt_i32_e32 vcc_lo, 5, v7
	v_cndmask_b32_e64 v8, 0, 1, vcc_lo
	v_cmp_eq_u32_e32 vcc_lo, 3, v7
	v_cndmask_b32_e64 v7, 0, 1, vcc_lo
	v_cmp_ne_u32_e32 vcc_lo, 0, v2
	v_or_b32_e32 v7, v7, v8
	v_mov_b32_e32 v8, 0x7e00
	v_add_nc_u32_e32 v3, v3, v7
	v_cndmask_b32_e32 v2, 0x7c00, v8, vcc_lo
	v_cmp_gt_i32_e32 vcc_lo, 31, v6
	v_cndmask_b32_e32 v3, 0x7c00, v3, vcc_lo
	v_cmp_eq_u32_e32 vcc_lo, 0x40f, v6
	v_cndmask_b32_e32 v2, v3, v2, vcc_lo
	v_lshrrev_b32_e32 v3, 16, v1
	v_and_or_b32 v2, 0x8000, v3, v2
	global_store_short v[4:5], v2, off
.LBB11_552:
	s_mov_b32 s7, 0
.LBB11_553:
	s_andn2_b32 vcc_lo, exec_lo, s7
	s_cbranch_vccnz .LBB11_569
; %bb.554:
	s_sext_i32_i16 s8, s5
	s_mov_b32 s7, -1
	s_cmp_lt_i32 s8, 2
	s_cbranch_scc1 .LBB11_564
; %bb.555:
	s_cmp_lt_i32 s8, 3
	s_cbranch_scc1 .LBB11_561
; %bb.556:
	s_cmp_gt_i32 s8, 3
	s_cbranch_scc0 .LBB11_558
; %bb.557:
	v_trunc_f64_e32 v[2:3], v[0:1]
	s_mov_b32 s7, 0
	v_ldexp_f64 v[6:7], v[2:3], 0xffffffe0
	v_floor_f64_e32 v[6:7], v[6:7]
	v_fma_f64 v[2:3], 0xc1f00000, v[6:7], v[2:3]
	v_cvt_i32_f64_e32 v7, v[6:7]
	v_cvt_u32_f64_e32 v6, v[2:3]
	global_store_dwordx2 v[4:5], v[6:7], off
.LBB11_558:
	s_andn2_b32 vcc_lo, exec_lo, s7
	s_cbranch_vccnz .LBB11_560
; %bb.559:
	v_cvt_i32_f64_e32 v2, v[0:1]
	global_store_dword v[4:5], v2, off
.LBB11_560:
	s_mov_b32 s7, 0
.LBB11_561:
	s_andn2_b32 vcc_lo, exec_lo, s7
	s_cbranch_vccnz .LBB11_563
; %bb.562:
	v_cvt_i32_f64_e32 v2, v[0:1]
	global_store_short v[4:5], v2, off
.LBB11_563:
	s_mov_b32 s7, 0
.LBB11_564:
	s_andn2_b32 vcc_lo, exec_lo, s7
	s_cbranch_vccnz .LBB11_569
; %bb.565:
	s_sext_i32_i16 s5, s5
	s_cmp_gt_i32 s5, 0
	s_mov_b32 s5, -1
	s_cbranch_scc0 .LBB11_567
; %bb.566:
	v_cvt_i32_f64_e32 v2, v[0:1]
	s_mov_b32 s5, 0
	global_store_byte v[4:5], v2, off
.LBB11_567:
	s_andn2_b32 vcc_lo, exec_lo, s5
	s_cbranch_vccnz .LBB11_569
; %bb.568:
	v_trunc_f64_e32 v[0:1], v[0:1]
	v_ldexp_f64 v[2:3], v[0:1], 0xffffffe0
	v_floor_f64_e32 v[2:3], v[2:3]
	v_fma_f64 v[0:1], 0xc1f00000, v[2:3], v[0:1]
	v_cvt_u32_f64_e32 v0, v[0:1]
	global_store_byte v[4:5], v0, off
.LBB11_569:
	s_or_b32 exec_lo, exec_lo, s6
	s_waitcnt lgkmcnt(0)
	s_and_b32 s34, s4, exec_lo
                                        ; implicit-def: $vgpr6
                                        ; implicit-def: $vgpr43
.LBB11_570:
	s_or_saveexec_b32 s35, s53
	s_mov_b32 s4, 0
                                        ; implicit-def: $sgpr5
                                        ; implicit-def: $vgpr4_vgpr5
                                        ; implicit-def: $vgpr0_vgpr1
	s_xor_b32 exec_lo, exec_lo, s35
	s_cbranch_execz .LBB11_1059
; %bb.571:
	v_cndmask_b32_e64 v0, 0, 1, s52
	s_andn2_b32 vcc_lo, exec_lo, s52
	s_cbranch_vccnz .LBB11_577
; %bb.572:
	s_cmp_lg_u32 s33, 0
	s_mov_b32 s8, 0
	s_cbranch_scc0 .LBB11_578
; %bb.573:
	s_min_u32 s10, s50, 15
	s_add_i32 s10, s10, 1
	s_cmp_eq_u32 s50, 2
	s_cbranch_scc1 .LBB11_579
; %bb.574:
	v_mov_b32_e32 v2, 0
	v_mov_b32_e32 v62, 0
	;; [unrolled: 1-line block ×3, first 2 shown]
	s_and_b32 s9, s10, 28
	s_add_u32 s4, s28, 0xc4
	s_addc_u32 s5, s29, 0
	s_mov_b32 s11, 0
	s_mov_b64 s[6:7], s[28:29]
.LBB11_575:                             ; =>This Inner Loop Header: Depth=1
	s_clause 0x1
	s_load_dwordx8 s[12:19], s[6:7], 0x4
	s_load_dwordx4 s[20:23], s[6:7], 0x24
	s_load_dwordx8 s[36:43], s[4:5], 0x0
	s_add_u32 s6, s6, 48
	s_addc_u32 s7, s7, 0
	s_add_i32 s11, s11, 4
	s_add_u32 s4, s4, 32
	s_addc_u32 s5, s5, 0
	s_cmp_lg_u32 s9, s11
	s_waitcnt lgkmcnt(0)
	v_mul_hi_u32 v3, s13, v1
	v_add_nc_u32_e32 v3, v1, v3
	v_lshrrev_b32_e32 v3, s14, v3
	v_mul_hi_u32 v4, s16, v3
	v_mul_lo_u32 v7, v3, s12
	v_add_nc_u32_e32 v4, v3, v4
	v_sub_nc_u32_e32 v1, v1, v7
	v_lshrrev_b32_e32 v4, s17, v4
	v_mul_lo_u32 v7, v1, s36
	v_mul_lo_u32 v9, v1, s37
	v_mul_hi_u32 v5, s19, v4
	v_add_nc_u32_e32 v5, v4, v5
	v_lshrrev_b32_e32 v5, s20, v5
	v_mul_hi_u32 v8, s22, v5
	v_mul_lo_u32 v10, v5, s18
	v_add_nc_u32_e32 v1, v5, v8
	v_mul_lo_u32 v8, v4, s15
	v_sub_nc_u32_e32 v4, v4, v10
	v_lshrrev_b32_e32 v1, s23, v1
	v_mul_lo_u32 v10, v4, s40
	v_mul_lo_u32 v4, v4, s41
	v_sub_nc_u32_e32 v3, v3, v8
	v_mul_lo_u32 v11, v1, s21
	v_mul_lo_u32 v8, v3, s38
	;; [unrolled: 1-line block ×3, first 2 shown]
	v_sub_nc_u32_e32 v5, v5, v11
	v_add3_u32 v7, v7, v62, v8
	v_mul_lo_u32 v11, v5, s42
	v_mul_lo_u32 v5, v5, s43
	v_add3_u32 v2, v9, v2, v3
	v_add3_u32 v62, v10, v7, v11
	v_add3_u32 v2, v4, v2, v5
	s_cbranch_scc1 .LBB11_575
; %bb.576:
	s_and_b32 s10, s10, 3
	s_cmp_eq_u32 s10, 0
	s_cbranch_scc0 .LBB11_580
	s_branch .LBB11_582
.LBB11_577:
	s_mov_b32 s8, -1
                                        ; implicit-def: $vgpr62
                                        ; implicit-def: $vgpr2
	s_branch .LBB11_582
.LBB11_578:
	v_mov_b32_e32 v62, 0
	v_mov_b32_e32 v2, 0
	s_branch .LBB11_582
.LBB11_579:
	v_mov_b32_e32 v62, 0
	v_mov_b32_e32 v2, 0
	;; [unrolled: 1-line block ×3, first 2 shown]
	s_mov_b32 s9, 0
	s_and_b32 s10, s10, 3
	s_cmp_eq_u32 s10, 0
	s_cbranch_scc1 .LBB11_582
.LBB11_580:
	s_lshl_b32 s4, s9, 3
	s_mul_i32 s6, s9, 12
	s_add_u32 s4, s28, s4
	s_addc_u32 s5, s29, 0
	s_add_u32 s4, s4, 0xc4
	s_addc_u32 s5, s5, 0
	;; [unrolled: 2-line block ×3, first 2 shown]
	.p2align	6
.LBB11_581:                             ; =>This Inner Loop Header: Depth=1
	s_clause 0x1
	s_load_dwordx2 s[12:13], s[6:7], 0x4
	s_load_dword s9, s[6:7], 0xc
	s_load_dwordx2 s[14:15], s[4:5], 0x0
	s_add_u32 s6, s6, 12
	s_addc_u32 s7, s7, 0
	s_add_u32 s4, s4, 8
	s_addc_u32 s5, s5, 0
	s_add_i32 s10, s10, -1
	s_cmp_lg_u32 s10, 0
	s_waitcnt lgkmcnt(0)
	v_mul_hi_u32 v3, s13, v1
	v_add_nc_u32_e32 v3, v1, v3
	v_lshrrev_b32_e32 v4, s9, v3
	v_mul_lo_u32 v3, v4, s12
	v_sub_nc_u32_e32 v1, v1, v3
	v_mad_u64_u32 v[62:63], null, v1, s14, v[62:63]
	v_mad_u64_u32 v[2:3], null, v1, s15, v[2:3]
	v_mov_b32_e32 v1, v4
	s_cbranch_scc1 .LBB11_581
.LBB11_582:
	s_andn2_b32 vcc_lo, exec_lo, s8
	s_cbranch_vccnz .LBB11_585
; %bb.583:
	s_clause 0x1
	s_load_dwordx4 s[4:7], s[28:29], 0x4
	s_load_dwordx2 s[8:9], s[28:29], 0xc4
	s_cmp_lt_u32 s33, 2
	s_waitcnt lgkmcnt(0)
	v_mul_hi_u32 v1, s5, v43
	v_add_nc_u32_e32 v1, v43, v1
	v_lshrrev_b32_e32 v1, s6, v1
	v_mul_lo_u32 v2, v1, s4
	v_sub_nc_u32_e32 v2, v43, v2
	v_mul_lo_u32 v62, v2, s8
	v_mul_lo_u32 v2, v2, s9
	s_cbranch_scc1 .LBB11_585
; %bb.584:
	s_clause 0x1
	s_load_dwordx4 s[4:7], s[28:29], 0x10
	s_load_dwordx2 s[8:9], s[28:29], 0xcc
	s_waitcnt lgkmcnt(0)
	v_mul_hi_u32 v3, s5, v1
	v_add_nc_u32_e32 v3, v1, v3
	v_lshrrev_b32_e32 v3, s6, v3
	v_mul_lo_u32 v3, v3, s4
	v_sub_nc_u32_e32 v1, v1, v3
	v_mad_u64_u32 v[62:63], null, v1, s8, v[62:63]
	v_mad_u64_u32 v[2:3], null, v1, s9, v[2:3]
.LBB11_585:
	v_cmp_ne_u32_e32 vcc_lo, 1, v0
	v_add_nc_u32_e32 v1, 0x80, v43
	s_cbranch_vccnz .LBB11_591
; %bb.586:
	s_cmp_lg_u32 s33, 0
	s_mov_b32 s8, 0
	s_cbranch_scc0 .LBB11_592
; %bb.587:
	s_min_u32 s10, s50, 15
	s_add_i32 s10, s10, 1
	s_cmp_eq_u32 s50, 2
	s_cbranch_scc1 .LBB11_593
; %bb.588:
	v_mov_b32_e32 v40, 0
	v_mov_b32_e32 v60, 0
	;; [unrolled: 1-line block ×3, first 2 shown]
	s_and_b32 s9, s10, 28
	s_add_u32 s4, s28, 0xc4
	s_addc_u32 s5, s29, 0
	s_mov_b32 s11, 0
	s_mov_b64 s[6:7], s[28:29]
.LBB11_589:                             ; =>This Inner Loop Header: Depth=1
	s_clause 0x1
	s_load_dwordx8 s[12:19], s[6:7], 0x4
	s_load_dwordx4 s[20:23], s[6:7], 0x24
	s_load_dwordx8 s[36:43], s[4:5], 0x0
	s_add_u32 s6, s6, 48
	s_addc_u32 s7, s7, 0
	s_add_i32 s11, s11, 4
	s_add_u32 s4, s4, 32
	s_addc_u32 s5, s5, 0
	s_cmp_lg_u32 s9, s11
	s_waitcnt lgkmcnt(0)
	v_mul_hi_u32 v4, s13, v3
	v_add_nc_u32_e32 v4, v3, v4
	v_lshrrev_b32_e32 v4, s14, v4
	v_mul_hi_u32 v5, s16, v4
	v_mul_lo_u32 v8, v4, s12
	v_add_nc_u32_e32 v5, v4, v5
	v_sub_nc_u32_e32 v3, v3, v8
	v_lshrrev_b32_e32 v5, s17, v5
	v_mul_lo_u32 v8, v3, s36
	v_mul_lo_u32 v10, v3, s37
	v_mul_hi_u32 v7, s19, v5
	v_add_nc_u32_e32 v7, v5, v7
	v_lshrrev_b32_e32 v7, s20, v7
	v_mul_hi_u32 v9, s22, v7
	v_mul_lo_u32 v11, v7, s18
	v_add_nc_u32_e32 v3, v7, v9
	v_mul_lo_u32 v9, v5, s15
	v_sub_nc_u32_e32 v5, v5, v11
	v_lshrrev_b32_e32 v3, s23, v3
	v_mul_lo_u32 v11, v5, s40
	v_mul_lo_u32 v5, v5, s41
	v_sub_nc_u32_e32 v4, v4, v9
	v_mul_lo_u32 v12, v3, s21
	v_mul_lo_u32 v9, v4, s38
	;; [unrolled: 1-line block ×3, first 2 shown]
	v_sub_nc_u32_e32 v7, v7, v12
	v_add3_u32 v8, v8, v60, v9
	v_mul_lo_u32 v12, v7, s42
	v_mul_lo_u32 v7, v7, s43
	v_add3_u32 v4, v10, v40, v4
	v_add3_u32 v60, v11, v8, v12
	;; [unrolled: 1-line block ×3, first 2 shown]
	s_cbranch_scc1 .LBB11_589
; %bb.590:
	s_and_b32 s10, s10, 3
	s_cmp_eq_u32 s10, 0
	s_cbranch_scc0 .LBB11_594
	s_branch .LBB11_596
.LBB11_591:
	s_mov_b32 s8, -1
                                        ; implicit-def: $vgpr60
                                        ; implicit-def: $vgpr40
	s_branch .LBB11_596
.LBB11_592:
	v_mov_b32_e32 v60, 0
	v_mov_b32_e32 v40, 0
	s_branch .LBB11_596
.LBB11_593:
	v_mov_b32_e32 v60, 0
	v_mov_b32_e32 v40, 0
	;; [unrolled: 1-line block ×3, first 2 shown]
	s_mov_b32 s9, 0
	s_and_b32 s10, s10, 3
	s_cmp_eq_u32 s10, 0
	s_cbranch_scc1 .LBB11_596
.LBB11_594:
	s_lshl_b32 s4, s9, 3
	s_mul_i32 s6, s9, 12
	s_add_u32 s4, s28, s4
	s_addc_u32 s5, s29, 0
	s_add_u32 s4, s4, 0xc4
	s_addc_u32 s5, s5, 0
	;; [unrolled: 2-line block ×3, first 2 shown]
	.p2align	6
.LBB11_595:                             ; =>This Inner Loop Header: Depth=1
	s_clause 0x1
	s_load_dwordx2 s[12:13], s[6:7], 0x4
	s_load_dword s9, s[6:7], 0xc
	s_load_dwordx2 s[14:15], s[4:5], 0x0
	s_add_u32 s6, s6, 12
	s_addc_u32 s7, s7, 0
	s_add_u32 s4, s4, 8
	s_addc_u32 s5, s5, 0
	s_add_i32 s10, s10, -1
	s_cmp_lg_u32 s10, 0
	s_waitcnt lgkmcnt(0)
	v_mul_hi_u32 v4, s13, v3
	v_add_nc_u32_e32 v4, v3, v4
	v_lshrrev_b32_e32 v4, s9, v4
	v_mul_lo_u32 v5, v4, s12
	v_sub_nc_u32_e32 v3, v3, v5
	v_mad_u64_u32 v[60:61], null, v3, s14, v[60:61]
	v_mad_u64_u32 v[40:41], null, v3, s15, v[40:41]
	v_mov_b32_e32 v3, v4
	s_cbranch_scc1 .LBB11_595
.LBB11_596:
	s_andn2_b32 vcc_lo, exec_lo, s8
	s_cbranch_vccnz .LBB11_599
; %bb.597:
	s_clause 0x1
	s_load_dwordx4 s[4:7], s[28:29], 0x4
	s_load_dwordx2 s[8:9], s[28:29], 0xc4
	s_cmp_lt_u32 s33, 2
	s_waitcnt lgkmcnt(0)
	v_mul_hi_u32 v3, s5, v1
	v_add_nc_u32_e32 v3, v1, v3
	v_lshrrev_b32_e32 v3, s6, v3
	v_mul_lo_u32 v4, v3, s4
	v_sub_nc_u32_e32 v1, v1, v4
	v_mul_lo_u32 v60, v1, s8
	v_mul_lo_u32 v40, v1, s9
	s_cbranch_scc1 .LBB11_599
; %bb.598:
	s_clause 0x1
	s_load_dwordx4 s[4:7], s[28:29], 0x10
	s_load_dwordx2 s[8:9], s[28:29], 0xcc
	s_waitcnt lgkmcnt(0)
	v_mul_hi_u32 v1, s5, v3
	v_add_nc_u32_e32 v1, v3, v1
	v_lshrrev_b32_e32 v1, s6, v1
	v_mul_lo_u32 v1, v1, s4
	v_sub_nc_u32_e32 v1, v3, v1
	v_mad_u64_u32 v[60:61], null, v1, s8, v[60:61]
	v_mad_u64_u32 v[40:41], null, v1, s9, v[40:41]
.LBB11_599:
	v_cmp_ne_u32_e32 vcc_lo, 1, v0
	v_add_nc_u32_e32 v1, 0x100, v43
	s_cbranch_vccnz .LBB11_605
; %bb.600:
	s_cmp_lg_u32 s33, 0
	s_mov_b32 s8, 0
	s_cbranch_scc0 .LBB11_606
; %bb.601:
	s_min_u32 s10, s50, 15
	s_add_i32 s10, s10, 1
	s_cmp_eq_u32 s50, 2
	s_cbranch_scc1 .LBB11_607
; %bb.602:
	v_mov_b32_e32 v41, 0
	v_mov_b32_e32 v58, 0
	;; [unrolled: 1-line block ×3, first 2 shown]
	s_and_b32 s9, s10, 28
	s_add_u32 s4, s28, 0xc4
	s_addc_u32 s5, s29, 0
	s_mov_b32 s11, 0
	s_mov_b64 s[6:7], s[28:29]
.LBB11_603:                             ; =>This Inner Loop Header: Depth=1
	s_clause 0x1
	s_load_dwordx8 s[12:19], s[6:7], 0x4
	s_load_dwordx4 s[20:23], s[6:7], 0x24
	s_load_dwordx8 s[36:43], s[4:5], 0x0
	s_add_u32 s6, s6, 48
	s_addc_u32 s7, s7, 0
	s_add_i32 s11, s11, 4
	s_add_u32 s4, s4, 32
	s_addc_u32 s5, s5, 0
	s_cmp_lg_u32 s9, s11
	s_waitcnt lgkmcnt(0)
	v_mul_hi_u32 v4, s13, v3
	v_add_nc_u32_e32 v4, v3, v4
	v_lshrrev_b32_e32 v4, s14, v4
	v_mul_hi_u32 v5, s16, v4
	v_mul_lo_u32 v8, v4, s12
	v_add_nc_u32_e32 v5, v4, v5
	v_sub_nc_u32_e32 v3, v3, v8
	v_lshrrev_b32_e32 v5, s17, v5
	v_mul_lo_u32 v8, v3, s36
	v_mul_lo_u32 v10, v3, s37
	v_mul_hi_u32 v7, s19, v5
	v_add_nc_u32_e32 v7, v5, v7
	v_lshrrev_b32_e32 v7, s20, v7
	v_mul_hi_u32 v9, s22, v7
	v_mul_lo_u32 v11, v7, s18
	v_add_nc_u32_e32 v3, v7, v9
	v_mul_lo_u32 v9, v5, s15
	v_sub_nc_u32_e32 v5, v5, v11
	v_lshrrev_b32_e32 v3, s23, v3
	v_mul_lo_u32 v11, v5, s40
	v_mul_lo_u32 v5, v5, s41
	v_sub_nc_u32_e32 v4, v4, v9
	v_mul_lo_u32 v12, v3, s21
	v_mul_lo_u32 v9, v4, s38
	;; [unrolled: 1-line block ×3, first 2 shown]
	v_sub_nc_u32_e32 v7, v7, v12
	v_add3_u32 v8, v8, v58, v9
	v_mul_lo_u32 v12, v7, s42
	v_mul_lo_u32 v7, v7, s43
	v_add3_u32 v4, v10, v41, v4
	v_add3_u32 v58, v11, v8, v12
	;; [unrolled: 1-line block ×3, first 2 shown]
	s_cbranch_scc1 .LBB11_603
; %bb.604:
	s_and_b32 s10, s10, 3
	s_cmp_eq_u32 s10, 0
	s_cbranch_scc0 .LBB11_608
	s_branch .LBB11_610
.LBB11_605:
	s_mov_b32 s8, -1
                                        ; implicit-def: $vgpr58
                                        ; implicit-def: $vgpr41
	s_branch .LBB11_610
.LBB11_606:
	v_mov_b32_e32 v58, 0
	v_mov_b32_e32 v41, 0
	s_branch .LBB11_610
.LBB11_607:
	v_mov_b32_e32 v58, 0
	v_mov_b32_e32 v41, 0
	;; [unrolled: 1-line block ×3, first 2 shown]
	s_mov_b32 s9, 0
	s_and_b32 s10, s10, 3
	s_cmp_eq_u32 s10, 0
	s_cbranch_scc1 .LBB11_610
.LBB11_608:
	s_lshl_b32 s4, s9, 3
	s_mul_i32 s6, s9, 12
	s_add_u32 s4, s28, s4
	s_addc_u32 s5, s29, 0
	s_add_u32 s4, s4, 0xc4
	s_addc_u32 s5, s5, 0
	;; [unrolled: 2-line block ×3, first 2 shown]
	.p2align	6
.LBB11_609:                             ; =>This Inner Loop Header: Depth=1
	s_clause 0x1
	s_load_dwordx2 s[12:13], s[6:7], 0x4
	s_load_dword s9, s[6:7], 0xc
	s_load_dwordx2 s[14:15], s[4:5], 0x0
	s_add_u32 s6, s6, 12
	s_addc_u32 s7, s7, 0
	s_add_u32 s4, s4, 8
	s_addc_u32 s5, s5, 0
	s_add_i32 s10, s10, -1
	s_cmp_lg_u32 s10, 0
	s_waitcnt lgkmcnt(0)
	v_mul_hi_u32 v4, s13, v3
	v_add_nc_u32_e32 v4, v3, v4
	v_lshrrev_b32_e32 v4, s9, v4
	v_mul_lo_u32 v5, v4, s12
	v_sub_nc_u32_e32 v3, v3, v5
	v_mad_u64_u32 v[58:59], null, v3, s14, v[58:59]
	v_mad_u64_u32 v[41:42], null, v3, s15, v[41:42]
	v_mov_b32_e32 v3, v4
	s_cbranch_scc1 .LBB11_609
.LBB11_610:
	s_andn2_b32 vcc_lo, exec_lo, s8
	s_cbranch_vccnz .LBB11_613
; %bb.611:
	s_clause 0x1
	s_load_dwordx4 s[4:7], s[28:29], 0x4
	s_load_dwordx2 s[8:9], s[28:29], 0xc4
	s_cmp_lt_u32 s33, 2
	s_waitcnt lgkmcnt(0)
	v_mul_hi_u32 v3, s5, v1
	v_add_nc_u32_e32 v3, v1, v3
	v_lshrrev_b32_e32 v3, s6, v3
	v_mul_lo_u32 v4, v3, s4
	v_sub_nc_u32_e32 v1, v1, v4
	v_mul_lo_u32 v58, v1, s8
	v_mul_lo_u32 v41, v1, s9
	s_cbranch_scc1 .LBB11_613
; %bb.612:
	s_clause 0x1
	s_load_dwordx4 s[4:7], s[28:29], 0x10
	s_load_dwordx2 s[8:9], s[28:29], 0xcc
	s_waitcnt lgkmcnt(0)
	v_mul_hi_u32 v1, s5, v3
	v_add_nc_u32_e32 v1, v3, v1
	v_lshrrev_b32_e32 v1, s6, v1
	v_mul_lo_u32 v1, v1, s4
	v_sub_nc_u32_e32 v1, v3, v1
	v_mad_u64_u32 v[58:59], null, v1, s8, v[58:59]
	v_mad_u64_u32 v[41:42], null, v1, s9, v[41:42]
.LBB11_613:
	v_cmp_ne_u32_e32 vcc_lo, 1, v0
	s_cbranch_vccnz .LBB11_619
; %bb.614:
	s_cmp_lg_u32 s33, 0
	s_mov_b32 s8, 0
	s_cbranch_scc0 .LBB11_620
; %bb.615:
	s_min_u32 s10, s50, 15
	s_add_i32 s10, s10, 1
	s_cmp_eq_u32 s50, 2
	s_cbranch_scc1 .LBB11_621
; %bb.616:
	v_mov_b32_e32 v46, 0
	v_mov_b32_e32 v56, 0
	;; [unrolled: 1-line block ×3, first 2 shown]
	s_and_b32 s9, s10, 28
	s_add_u32 s4, s28, 0xc4
	s_addc_u32 s5, s29, 0
	s_mov_b32 s11, 0
	s_mov_b64 s[6:7], s[28:29]
.LBB11_617:                             ; =>This Inner Loop Header: Depth=1
	s_clause 0x1
	s_load_dwordx8 s[12:19], s[6:7], 0x4
	s_load_dwordx4 s[20:23], s[6:7], 0x24
	s_load_dwordx8 s[36:43], s[4:5], 0x0
	s_add_u32 s6, s6, 48
	s_addc_u32 s7, s7, 0
	s_add_i32 s11, s11, 4
	s_add_u32 s4, s4, 32
	s_addc_u32 s5, s5, 0
	s_cmp_lg_u32 s9, s11
	s_waitcnt lgkmcnt(0)
	v_mul_hi_u32 v1, s13, v0
	v_add_nc_u32_e32 v1, v0, v1
	v_lshrrev_b32_e32 v1, s14, v1
	v_mul_hi_u32 v3, s16, v1
	v_mul_lo_u32 v5, v1, s12
	v_add_nc_u32_e32 v3, v1, v3
	v_sub_nc_u32_e32 v0, v0, v5
	v_lshrrev_b32_e32 v3, s17, v3
	v_mul_lo_u32 v5, v0, s36
	v_mul_lo_u32 v8, v0, s37
	v_mul_hi_u32 v4, s19, v3
	v_add_nc_u32_e32 v4, v3, v4
	v_lshrrev_b32_e32 v4, s20, v4
	v_mul_hi_u32 v7, s22, v4
	v_mul_lo_u32 v9, v4, s18
	v_add_nc_u32_e32 v0, v4, v7
	v_mul_lo_u32 v7, v3, s15
	v_sub_nc_u32_e32 v3, v3, v9
	v_lshrrev_b32_e32 v0, s23, v0
	v_mul_lo_u32 v9, v3, s40
	v_mul_lo_u32 v3, v3, s41
	v_sub_nc_u32_e32 v1, v1, v7
	v_mul_lo_u32 v10, v0, s21
	v_mul_lo_u32 v7, v1, s38
	;; [unrolled: 1-line block ×3, first 2 shown]
	v_sub_nc_u32_e32 v4, v4, v10
	v_add3_u32 v5, v5, v56, v7
	v_mul_lo_u32 v10, v4, s42
	v_mul_lo_u32 v4, v4, s43
	v_add3_u32 v1, v8, v46, v1
	v_add3_u32 v56, v9, v5, v10
	;; [unrolled: 1-line block ×3, first 2 shown]
	s_cbranch_scc1 .LBB11_617
; %bb.618:
	s_and_b32 s10, s10, 3
	s_cmp_eq_u32 s10, 0
	s_cbranch_scc0 .LBB11_622
	s_branch .LBB11_624
.LBB11_619:
	s_mov_b32 s8, -1
                                        ; implicit-def: $vgpr56
                                        ; implicit-def: $vgpr46
	s_branch .LBB11_624
.LBB11_620:
	v_mov_b32_e32 v56, 0
	v_mov_b32_e32 v46, 0
	s_branch .LBB11_624
.LBB11_621:
	v_mov_b32_e32 v56, 0
	v_mov_b32_e32 v46, 0
	;; [unrolled: 1-line block ×3, first 2 shown]
	s_mov_b32 s9, 0
	s_and_b32 s10, s10, 3
	s_cmp_eq_u32 s10, 0
	s_cbranch_scc1 .LBB11_624
.LBB11_622:
	s_lshl_b32 s4, s9, 3
	s_mul_i32 s6, s9, 12
	s_add_u32 s4, s28, s4
	s_addc_u32 s5, s29, 0
	s_add_u32 s4, s4, 0xc4
	s_addc_u32 s5, s5, 0
	s_add_u32 s6, s28, s6
	s_addc_u32 s7, s29, 0
	.p2align	6
.LBB11_623:                             ; =>This Inner Loop Header: Depth=1
	s_clause 0x1
	s_load_dwordx2 s[12:13], s[6:7], 0x4
	s_load_dword s9, s[6:7], 0xc
	s_load_dwordx2 s[14:15], s[4:5], 0x0
	s_add_u32 s6, s6, 12
	s_addc_u32 s7, s7, 0
	s_add_u32 s4, s4, 8
	s_addc_u32 s5, s5, 0
	s_add_i32 s10, s10, -1
	s_cmp_lg_u32 s10, 0
	s_waitcnt lgkmcnt(0)
	v_mul_hi_u32 v1, s13, v0
	v_add_nc_u32_e32 v1, v0, v1
	v_lshrrev_b32_e32 v1, s9, v1
	v_mul_lo_u32 v3, v1, s12
	v_sub_nc_u32_e32 v0, v0, v3
	v_mad_u64_u32 v[56:57], null, v0, s14, v[56:57]
	v_mad_u64_u32 v[46:47], null, v0, s15, v[46:47]
	v_mov_b32_e32 v0, v1
	s_cbranch_scc1 .LBB11_623
.LBB11_624:
	s_andn2_b32 vcc_lo, exec_lo, s8
	s_cbranch_vccnz .LBB11_627
; %bb.625:
	s_clause 0x1
	s_load_dwordx4 s[4:7], s[28:29], 0x4
	s_load_dwordx2 s[8:9], s[28:29], 0xc4
	s_cmp_lt_u32 s33, 2
	s_waitcnt lgkmcnt(0)
	v_mul_hi_u32 v0, s5, v6
	v_add_nc_u32_e32 v0, v6, v0
	v_lshrrev_b32_e32 v0, s6, v0
	v_mul_lo_u32 v1, v0, s4
	v_sub_nc_u32_e32 v1, v6, v1
	v_mul_lo_u32 v56, v1, s8
	v_mul_lo_u32 v46, v1, s9
	s_cbranch_scc1 .LBB11_627
; %bb.626:
	s_clause 0x1
	s_load_dwordx4 s[4:7], s[28:29], 0x10
	s_load_dwordx2 s[8:9], s[28:29], 0xcc
	s_waitcnt lgkmcnt(0)
	v_mul_hi_u32 v1, s5, v0
	v_add_nc_u32_e32 v1, v0, v1
	v_lshrrev_b32_e32 v1, s6, v1
	v_mul_lo_u32 v1, v1, s4
	v_sub_nc_u32_e32 v0, v0, v1
	v_mad_u64_u32 v[56:57], null, v0, s8, v[56:57]
	v_mad_u64_u32 v[46:47], null, v0, s9, v[46:47]
.LBB11_627:
	s_clause 0x1
	s_load_dword s26, s[26:27], 0x160
	s_load_dwordx4 s[36:39], s[28:29], 0x148
	s_getpc_b64 s[28:29]
	s_add_u32 s28, s28, _ZN2at6native6invokeIZZZNS0_12_GLOBAL__N_121bessel_y1_kernel_cudaERNS_18TensorIteratorBaseEENKUlvE_clEvENKUlvE_clEvEUldE_j15function_traitsIS7_EEENT1_11result_typeERKT_PrKPcPKT0_PKN3c1010ScalarTypeEi@rel32@lo+4
	s_addc_u32 s29, s29, _ZN2at6native6invokeIZZZNS0_12_GLOBAL__N_121bessel_y1_kernel_cudaERNS_18TensorIteratorBaseEENKUlvE_clEvENKUlvE_clEvEUldE_j15function_traitsIS7_EEENT1_11result_typeERKT_PrKPcPKT0_PKN3c1010ScalarTypeEi@rel32@hi+12
	s_waitcnt lgkmcnt(0)
	s_lshr_b32 s27, s26, 16
	v_mov_b32_e32 v0, s38
	v_mov_b32_e32 v1, s39
	v_mov_b32_e32 v3, s27
	s_swappc_b64 s[30:31], s[28:29]
	v_mov_b32_e32 v44, v0
	v_mov_b32_e32 v45, v1
	v_mov_b32_e32 v0, s38
	v_mov_b32_e32 v1, s39
	v_mov_b32_e32 v2, v40
	v_mov_b32_e32 v3, s27
	s_swappc_b64 s[30:31], s[28:29]
	v_mov_b32_e32 v42, v0
	v_mov_b32_e32 v43, v1
	v_mov_b32_e32 v0, s38
	;; [unrolled: 7-line block ×3, first 2 shown]
	v_mov_b32_e32 v1, s39
	v_mov_b32_e32 v2, v46
	;; [unrolled: 1-line block ×3, first 2 shown]
	s_swappc_b64 s[30:31], s[28:29]
	v_add_co_u32 v2, s4, s36, v62
	v_add_co_ci_u32_e64 v3, null, s37, 0, s4
	s_bfe_u32 s5, s26, 0x80008
	s_cmp_lt_i32 s5, 11
	s_cbranch_scc1 .LBB11_706
; %bb.628:
	s_and_b32 s6, 0xffff, s5
	s_mov_b32 s9, -1
	s_mov_b32 s7, 0
	s_cmp_gt_i32 s6, 25
	s_mov_b32 s8, 0
	s_mov_b32 s4, 0
	s_cbranch_scc0 .LBB11_661
; %bb.629:
	s_cmp_gt_i32 s6, 28
	s_cbranch_scc0 .LBB11_644
; %bb.630:
	s_cmp_gt_i32 s6, 43
	s_cbranch_scc0 .LBB11_640
; %bb.631:
	s_cmp_gt_i32 s6, 45
	s_cbranch_scc0 .LBB11_634
; %bb.632:
	s_mov_b32 s4, -1
	s_mov_b32 s9, 0
	s_cmp_eq_u32 s6, 46
	s_cbranch_scc0 .LBB11_634
; %bb.633:
	v_cvt_f32_f64_e32 v4, v[44:45]
	s_mov_b32 s4, 0
	s_mov_b32 s8, -1
	v_bfe_u32 v5, v4, 16, 1
	v_cmp_o_f32_e32 vcc_lo, v4, v4
	v_add3_u32 v4, v4, v5, 0x7fff
	v_mov_b32_e32 v5, 0x7fc0
	v_cndmask_b32_sdwa v4, v5, v4, vcc_lo dst_sel:DWORD dst_unused:UNUSED_PAD src0_sel:DWORD src1_sel:WORD_1
	global_store_dword v[2:3], v4, off
.LBB11_634:
	s_and_b32 vcc_lo, exec_lo, s9
	s_cbranch_vccz .LBB11_639
; %bb.635:
	s_cmp_eq_u32 s6, 44
	s_mov_b32 s4, -1
	s_cbranch_scc0 .LBB11_639
; %bb.636:
	v_cvt_f32_f64_e32 v4, v[44:45]
	v_mov_b32_e32 v5, 0xff
	s_mov_b32 s8, exec_lo
	v_bfe_u32 v6, v4, 23, 8
	v_cmpx_ne_u32_e32 0xff, v6
	s_cbranch_execz .LBB11_638
; %bb.637:
	v_and_b32_e32 v5, 0x400000, v4
	v_and_or_b32 v6, 0x3fffff, v4, v6
	v_lshrrev_b32_e32 v4, 23, v4
	v_cmp_ne_u32_e32 vcc_lo, 0, v5
	v_cmp_ne_u32_e64 s4, 0, v6
	s_and_b32 s4, vcc_lo, s4
	v_cndmask_b32_e64 v5, 0, 1, s4
	v_add_nc_u32_e32 v5, v4, v5
.LBB11_638:
	s_or_b32 exec_lo, exec_lo, s8
	s_mov_b32 s4, 0
	s_mov_b32 s8, -1
	global_store_byte v[2:3], v5, off
.LBB11_639:
	s_mov_b32 s9, 0
.LBB11_640:
	s_and_b32 vcc_lo, exec_lo, s9
	s_cbranch_vccz .LBB11_643
; %bb.641:
	s_cmp_eq_u32 s6, 29
	s_mov_b32 s4, -1
	s_cbranch_scc0 .LBB11_643
; %bb.642:
	v_trunc_f64_e32 v[4:5], v[44:45]
	s_mov_b32 s4, 0
	s_mov_b32 s8, -1
	v_ldexp_f64 v[6:7], v[4:5], 0xffffffe0
	v_floor_f64_e32 v[6:7], v[6:7]
	v_fma_f64 v[4:5], 0xc1f00000, v[6:7], v[4:5]
	v_cvt_u32_f64_e32 v6, v[6:7]
	v_cvt_u32_f64_e32 v5, v[4:5]
	global_store_dwordx2 v[2:3], v[5:6], off
.LBB11_643:
	s_mov_b32 s9, 0
.LBB11_644:
	s_and_b32 vcc_lo, exec_lo, s9
	s_cbranch_vccz .LBB11_660
; %bb.645:
	s_cmp_lt_i32 s6, 27
	s_mov_b32 s8, -1
	s_cbranch_scc1 .LBB11_651
; %bb.646:
	s_cmp_gt_i32 s6, 27
	s_cbranch_scc0 .LBB11_648
; %bb.647:
	v_cvt_u32_f64_e32 v4, v[44:45]
	s_mov_b32 s8, 0
	global_store_dword v[2:3], v4, off
.LBB11_648:
	s_andn2_b32 vcc_lo, exec_lo, s8
	s_cbranch_vccnz .LBB11_650
; %bb.649:
	v_cvt_u32_f64_e32 v4, v[44:45]
	global_store_short v[2:3], v4, off
.LBB11_650:
	s_mov_b32 s8, 0
.LBB11_651:
	s_andn2_b32 vcc_lo, exec_lo, s8
	s_cbranch_vccnz .LBB11_659
; %bb.652:
	v_cvt_f32_f64_e32 v4, v[44:45]
	v_mov_b32_e32 v6, 0x80
	s_mov_b32 s8, exec_lo
	v_and_b32_e32 v5, 0x7fffffff, v4
	v_cmpx_gt_u32_e32 0x43800000, v5
	s_cbranch_execz .LBB11_658
; %bb.653:
	v_cmp_lt_u32_e32 vcc_lo, 0x3bffffff, v5
	s_mov_b32 s9, 0
                                        ; implicit-def: $vgpr5
	s_and_saveexec_b32 s10, vcc_lo
	s_xor_b32 s10, exec_lo, s10
	s_cbranch_execz .LBB11_1103
; %bb.654:
	v_bfe_u32 v5, v4, 20, 1
	s_mov_b32 s9, exec_lo
	v_add3_u32 v5, v4, v5, 0x487ffff
	v_lshrrev_b32_e32 v5, 20, v5
	s_andn2_saveexec_b32 s10, s10
	s_cbranch_execnz .LBB11_1104
.LBB11_655:
	s_or_b32 exec_lo, exec_lo, s10
	v_mov_b32_e32 v6, 0
	s_and_saveexec_b32 s10, s9
.LBB11_656:
	v_lshrrev_b32_e32 v4, 24, v4
	v_and_or_b32 v6, 0x80, v4, v5
.LBB11_657:
	s_or_b32 exec_lo, exec_lo, s10
.LBB11_658:
	s_or_b32 exec_lo, exec_lo, s8
	global_store_byte v[2:3], v6, off
.LBB11_659:
	s_mov_b32 s8, -1
.LBB11_660:
	s_mov_b32 s9, 0
.LBB11_661:
	s_and_b32 vcc_lo, exec_lo, s9
	s_cbranch_vccz .LBB11_701
; %bb.662:
	s_cmp_gt_i32 s6, 22
	s_mov_b32 s7, -1
	s_cbranch_scc0 .LBB11_694
; %bb.663:
	s_cmp_lt_i32 s6, 24
	s_cbranch_scc1 .LBB11_683
; %bb.664:
	s_cmp_gt_i32 s6, 24
	s_cbranch_scc0 .LBB11_672
; %bb.665:
	v_cvt_f32_f64_e32 v4, v[44:45]
	v_mov_b32_e32 v6, 0x80
	s_mov_b32 s7, exec_lo
	v_and_b32_e32 v5, 0x7fffffff, v4
	v_cmpx_gt_u32_e32 0x47800000, v5
	s_cbranch_execz .LBB11_671
; %bb.666:
	v_cmp_lt_u32_e32 vcc_lo, 0x37ffffff, v5
	s_mov_b32 s8, 0
                                        ; implicit-def: $vgpr5
	s_and_saveexec_b32 s9, vcc_lo
	s_xor_b32 s9, exec_lo, s9
	s_cbranch_execz .LBB11_1106
; %bb.667:
	v_bfe_u32 v5, v4, 21, 1
	s_mov_b32 s8, exec_lo
	v_add3_u32 v5, v4, v5, 0x88fffff
	v_lshrrev_b32_e32 v5, 21, v5
	s_andn2_saveexec_b32 s9, s9
	s_cbranch_execnz .LBB11_1107
.LBB11_668:
	s_or_b32 exec_lo, exec_lo, s9
	v_mov_b32_e32 v6, 0
	s_and_saveexec_b32 s9, s8
.LBB11_669:
	v_lshrrev_b32_e32 v4, 24, v4
	v_and_or_b32 v6, 0x80, v4, v5
.LBB11_670:
	s_or_b32 exec_lo, exec_lo, s9
.LBB11_671:
	s_or_b32 exec_lo, exec_lo, s7
	s_mov_b32 s7, 0
	global_store_byte v[2:3], v6, off
.LBB11_672:
	s_and_b32 vcc_lo, exec_lo, s7
	s_cbranch_vccz .LBB11_682
; %bb.673:
	v_cvt_f32_f64_e32 v4, v[44:45]
	s_mov_b32 s7, exec_lo
                                        ; implicit-def: $vgpr5
	v_and_b32_e32 v6, 0x7fffffff, v4
	v_cmpx_gt_u32_e32 0x43f00000, v6
	s_xor_b32 s7, exec_lo, s7
	s_cbranch_execz .LBB11_679
; %bb.674:
	s_mov_b32 s8, exec_lo
                                        ; implicit-def: $vgpr5
	v_cmpx_lt_u32_e32 0x3c7fffff, v6
	s_xor_b32 s8, exec_lo, s8
; %bb.675:
	v_bfe_u32 v5, v4, 20, 1
	v_add3_u32 v5, v4, v5, 0x407ffff
	v_and_b32_e32 v6, 0xff00000, v5
	v_lshrrev_b32_e32 v5, 20, v5
	v_cmp_ne_u32_e32 vcc_lo, 0x7f00000, v6
	v_cndmask_b32_e32 v5, 0x7e, v5, vcc_lo
; %bb.676:
	s_andn2_saveexec_b32 s8, s8
; %bb.677:
	v_add_f32_e64 v5, 0x46800000, |v4|
; %bb.678:
	s_or_b32 exec_lo, exec_lo, s8
                                        ; implicit-def: $vgpr6
.LBB11_679:
	s_andn2_saveexec_b32 s7, s7
; %bb.680:
	v_mov_b32_e32 v5, 0x7f
	v_cmp_lt_u32_e32 vcc_lo, 0x7f800000, v6
	v_cndmask_b32_e32 v5, 0x7e, v5, vcc_lo
; %bb.681:
	s_or_b32 exec_lo, exec_lo, s7
	v_lshrrev_b32_e32 v4, 24, v4
	v_and_or_b32 v4, 0x80, v4, v5
	global_store_byte v[2:3], v4, off
.LBB11_682:
	s_mov_b32 s7, 0
.LBB11_683:
	s_andn2_b32 vcc_lo, exec_lo, s7
	s_cbranch_vccnz .LBB11_693
; %bb.684:
	v_cvt_f32_f64_e32 v4, v[44:45]
	s_mov_b32 s7, exec_lo
                                        ; implicit-def: $vgpr5
	v_and_b32_e32 v6, 0x7fffffff, v4
	v_cmpx_gt_u32_e32 0x47800000, v6
	s_xor_b32 s7, exec_lo, s7
	s_cbranch_execz .LBB11_690
; %bb.685:
	s_mov_b32 s8, exec_lo
                                        ; implicit-def: $vgpr5
	v_cmpx_lt_u32_e32 0x387fffff, v6
	s_xor_b32 s8, exec_lo, s8
; %bb.686:
	v_bfe_u32 v5, v4, 21, 1
	v_add3_u32 v5, v4, v5, 0x80fffff
	v_lshrrev_b32_e32 v5, 21, v5
; %bb.687:
	s_andn2_saveexec_b32 s8, s8
; %bb.688:
	v_add_f32_e64 v5, 0x43000000, |v4|
; %bb.689:
	s_or_b32 exec_lo, exec_lo, s8
                                        ; implicit-def: $vgpr6
.LBB11_690:
	s_andn2_saveexec_b32 s7, s7
; %bb.691:
	v_mov_b32_e32 v5, 0x7f
	v_cmp_lt_u32_e32 vcc_lo, 0x7f800000, v6
	v_cndmask_b32_e32 v5, 0x7c, v5, vcc_lo
; %bb.692:
	s_or_b32 exec_lo, exec_lo, s7
	v_lshrrev_b32_e32 v4, 24, v4
	v_and_or_b32 v4, 0x80, v4, v5
	global_store_byte v[2:3], v4, off
.LBB11_693:
	s_mov_b32 s7, 0
	s_mov_b32 s8, -1
.LBB11_694:
	s_andn2_b32 vcc_lo, exec_lo, s7
	s_mov_b32 s7, 0
	s_cbranch_vccnz .LBB11_701
; %bb.695:
	s_cmp_gt_i32 s6, 14
	s_mov_b32 s7, -1
	s_cbranch_scc0 .LBB11_699
; %bb.696:
	s_cmp_eq_u32 s6, 15
	s_mov_b32 s4, -1
	s_cbranch_scc0 .LBB11_698
; %bb.697:
	v_cvt_f32_f64_e32 v4, v[44:45]
	s_mov_b32 s4, 0
	s_mov_b32 s8, -1
	v_bfe_u32 v5, v4, 16, 1
	v_cmp_o_f32_e32 vcc_lo, v4, v4
	v_add3_u32 v4, v4, v5, 0x7fff
	v_mov_b32_e32 v5, 0x7fc0
	v_cndmask_b32_sdwa v4, v5, v4, vcc_lo dst_sel:DWORD dst_unused:UNUSED_PAD src0_sel:DWORD src1_sel:WORD_1
	global_store_short v[2:3], v4, off
.LBB11_698:
	s_mov_b32 s7, 0
.LBB11_699:
	s_and_b32 vcc_lo, exec_lo, s7
	s_mov_b32 s7, 0
	s_cbranch_vccz .LBB11_701
; %bb.700:
	s_cmp_lg_u32 s6, 11
	s_mov_b32 s7, -1
	s_cselect_b32 s4, -1, 0
.LBB11_701:
	s_and_b32 vcc_lo, exec_lo, s4
	s_mov_b32 s6, s34
	s_cbranch_vccnz .LBB11_1105
; %bb.702:
	s_andn2_b32 vcc_lo, exec_lo, s7
	s_cbranch_vccnz .LBB11_704
.LBB11_703:
	v_cmp_neq_f64_e32 vcc_lo, 0, v[44:45]
	s_mov_b32 s8, -1
	v_cndmask_b32_e64 v4, 0, 1, vcc_lo
	global_store_byte v[2:3], v4, off
.LBB11_704:
.LBB11_705:
	s_andn2_b32 vcc_lo, exec_lo, s8
	s_cbranch_vccz .LBB11_745
	s_branch .LBB11_1057
.LBB11_706:
	s_mov_b32 s8, 0
	s_mov_b32 s6, s34
	s_cbranch_execz .LBB11_705
; %bb.707:
	s_and_b32 s4, 0xffff, s5
	s_mov_b32 s5, -1
	s_cmp_lt_i32 s4, 5
	s_cbranch_scc1 .LBB11_728
; %bb.708:
	s_cmp_lt_i32 s4, 8
	s_cbranch_scc1 .LBB11_718
; %bb.709:
	;; [unrolled: 3-line block ×3, first 2 shown]
	s_cmp_gt_i32 s4, 9
	s_cbranch_scc0 .LBB11_712
; %bb.711:
	v_mov_b32_e32 v46, 0
	s_mov_b32 s5, 0
	v_mov_b32_e32 v47, v46
	global_store_dwordx4 v[2:3], v[44:47], off
.LBB11_712:
	s_andn2_b32 vcc_lo, exec_lo, s5
	s_cbranch_vccnz .LBB11_714
; %bb.713:
	v_cvt_f32_f64_e32 v4, v[44:45]
	v_mov_b32_e32 v5, 0
	global_store_dwordx2 v[2:3], v[4:5], off
.LBB11_714:
	s_mov_b32 s5, 0
.LBB11_715:
	s_andn2_b32 vcc_lo, exec_lo, s5
	s_cbranch_vccnz .LBB11_717
; %bb.716:
	v_and_or_b32 v4, 0x1ff, v45, v44
	v_lshrrev_b32_e32 v5, 8, v45
	v_bfe_u32 v6, v45, 20, 11
	v_cmp_ne_u32_e32 vcc_lo, 0, v4
	v_sub_nc_u32_e32 v7, 0x3f1, v6
	v_add_nc_u32_e32 v6, 0xfffffc10, v6
	v_cndmask_b32_e64 v4, 0, 1, vcc_lo
	v_and_or_b32 v4, 0xffe, v5, v4
	v_med3_i32 v5, v7, 0, 13
	v_or_b32_e32 v7, 0x1000, v4
	v_lshrrev_b32_e32 v8, v5, v7
	v_lshlrev_b32_e32 v5, v5, v8
	v_cmp_ne_u32_e32 vcc_lo, v5, v7
	v_lshl_or_b32 v7, v6, 12, v4
	v_cndmask_b32_e64 v5, 0, 1, vcc_lo
	v_cmp_gt_i32_e32 vcc_lo, 1, v6
	v_or_b32_e32 v5, v8, v5
	v_cndmask_b32_e32 v5, v7, v5, vcc_lo
	v_and_b32_e32 v7, 7, v5
	v_lshrrev_b32_e32 v5, 2, v5
	v_cmp_lt_i32_e32 vcc_lo, 5, v7
	v_cndmask_b32_e64 v8, 0, 1, vcc_lo
	v_cmp_eq_u32_e32 vcc_lo, 3, v7
	v_cndmask_b32_e64 v7, 0, 1, vcc_lo
	v_cmp_ne_u32_e32 vcc_lo, 0, v4
	v_or_b32_e32 v7, v7, v8
	v_mov_b32_e32 v8, 0x7e00
	v_add_nc_u32_e32 v5, v5, v7
	v_cndmask_b32_e32 v4, 0x7c00, v8, vcc_lo
	v_cmp_gt_i32_e32 vcc_lo, 31, v6
	v_cndmask_b32_e32 v5, 0x7c00, v5, vcc_lo
	v_cmp_eq_u32_e32 vcc_lo, 0x40f, v6
	v_cndmask_b32_e32 v4, v5, v4, vcc_lo
	v_lshrrev_b32_e32 v5, 16, v45
	v_and_or_b32 v4, 0x8000, v5, v4
	v_and_b32_e32 v4, 0xffff, v4
	global_store_dword v[2:3], v4, off
.LBB11_717:
	s_mov_b32 s5, 0
.LBB11_718:
	s_andn2_b32 vcc_lo, exec_lo, s5
	s_cbranch_vccnz .LBB11_727
; %bb.719:
	s_cmp_lt_i32 s4, 6
	s_mov_b32 s5, -1
	s_cbranch_scc1 .LBB11_725
; %bb.720:
	s_cmp_gt_i32 s4, 6
	s_cbranch_scc0 .LBB11_722
; %bb.721:
	s_mov_b32 s5, 0
	global_store_dwordx2 v[2:3], v[44:45], off
.LBB11_722:
	s_andn2_b32 vcc_lo, exec_lo, s5
	s_cbranch_vccnz .LBB11_724
; %bb.723:
	v_cvt_f32_f64_e32 v4, v[44:45]
	global_store_dword v[2:3], v4, off
.LBB11_724:
	s_mov_b32 s5, 0
.LBB11_725:
	s_andn2_b32 vcc_lo, exec_lo, s5
	s_cbranch_vccnz .LBB11_727
; %bb.726:
	v_and_or_b32 v4, 0x1ff, v45, v44
	v_lshrrev_b32_e32 v5, 8, v45
	v_bfe_u32 v6, v45, 20, 11
	v_cmp_ne_u32_e32 vcc_lo, 0, v4
	v_sub_nc_u32_e32 v7, 0x3f1, v6
	v_add_nc_u32_e32 v6, 0xfffffc10, v6
	v_cndmask_b32_e64 v4, 0, 1, vcc_lo
	v_and_or_b32 v4, 0xffe, v5, v4
	v_med3_i32 v5, v7, 0, 13
	v_or_b32_e32 v7, 0x1000, v4
	v_lshrrev_b32_e32 v8, v5, v7
	v_lshlrev_b32_e32 v5, v5, v8
	v_cmp_ne_u32_e32 vcc_lo, v5, v7
	v_lshl_or_b32 v7, v6, 12, v4
	v_cndmask_b32_e64 v5, 0, 1, vcc_lo
	v_cmp_gt_i32_e32 vcc_lo, 1, v6
	v_or_b32_e32 v5, v8, v5
	v_cndmask_b32_e32 v5, v7, v5, vcc_lo
	v_and_b32_e32 v7, 7, v5
	v_lshrrev_b32_e32 v5, 2, v5
	v_cmp_lt_i32_e32 vcc_lo, 5, v7
	v_cndmask_b32_e64 v8, 0, 1, vcc_lo
	v_cmp_eq_u32_e32 vcc_lo, 3, v7
	v_cndmask_b32_e64 v7, 0, 1, vcc_lo
	v_cmp_ne_u32_e32 vcc_lo, 0, v4
	v_or_b32_e32 v7, v7, v8
	v_mov_b32_e32 v8, 0x7e00
	v_add_nc_u32_e32 v5, v5, v7
	v_cndmask_b32_e32 v4, 0x7c00, v8, vcc_lo
	v_cmp_gt_i32_e32 vcc_lo, 31, v6
	v_cndmask_b32_e32 v5, 0x7c00, v5, vcc_lo
	v_cmp_eq_u32_e32 vcc_lo, 0x40f, v6
	v_cndmask_b32_e32 v4, v5, v4, vcc_lo
	v_lshrrev_b32_e32 v5, 16, v45
	v_and_or_b32 v4, 0x8000, v5, v4
	global_store_short v[2:3], v4, off
.LBB11_727:
	s_mov_b32 s5, 0
.LBB11_728:
	s_andn2_b32 vcc_lo, exec_lo, s5
	s_cbranch_vccnz .LBB11_744
; %bb.729:
	s_cmp_lt_i32 s4, 2
	s_mov_b32 s5, -1
	s_cbranch_scc1 .LBB11_739
; %bb.730:
	s_cmp_lt_i32 s4, 3
	s_cbranch_scc1 .LBB11_736
; %bb.731:
	s_cmp_gt_i32 s4, 3
	s_cbranch_scc0 .LBB11_733
; %bb.732:
	v_trunc_f64_e32 v[4:5], v[44:45]
	s_mov_b32 s5, 0
	v_ldexp_f64 v[6:7], v[4:5], 0xffffffe0
	v_floor_f64_e32 v[6:7], v[6:7]
	v_fma_f64 v[4:5], 0xc1f00000, v[6:7], v[4:5]
	v_cvt_i32_f64_e32 v6, v[6:7]
	v_cvt_u32_f64_e32 v5, v[4:5]
	global_store_dwordx2 v[2:3], v[5:6], off
.LBB11_733:
	s_andn2_b32 vcc_lo, exec_lo, s5
	s_cbranch_vccnz .LBB11_735
; %bb.734:
	v_cvt_i32_f64_e32 v4, v[44:45]
	global_store_dword v[2:3], v4, off
.LBB11_735:
	s_mov_b32 s5, 0
.LBB11_736:
	s_andn2_b32 vcc_lo, exec_lo, s5
	s_cbranch_vccnz .LBB11_738
; %bb.737:
	v_cvt_i32_f64_e32 v4, v[44:45]
	global_store_short v[2:3], v4, off
.LBB11_738:
	s_mov_b32 s5, 0
.LBB11_739:
	s_andn2_b32 vcc_lo, exec_lo, s5
	s_cbranch_vccnz .LBB11_744
; %bb.740:
	s_cmp_gt_i32 s4, 0
	s_mov_b32 s4, -1
	s_cbranch_scc0 .LBB11_742
; %bb.741:
	v_cvt_i32_f64_e32 v4, v[44:45]
	s_mov_b32 s4, 0
	global_store_byte v[2:3], v4, off
.LBB11_742:
	s_andn2_b32 vcc_lo, exec_lo, s4
	s_cbranch_vccnz .LBB11_744
; %bb.743:
	v_trunc_f64_e32 v[4:5], v[44:45]
	v_ldexp_f64 v[6:7], v[4:5], 0xffffffe0
	v_floor_f64_e32 v[6:7], v[6:7]
	v_fma_f64 v[4:5], 0xc1f00000, v[6:7], v[4:5]
	v_cvt_u32_f64_e32 v4, v[4:5]
	global_store_byte v[2:3], v4, off
.LBB11_744:
.LBB11_745:
	v_add_co_u32 v2, s5, s36, v60
	s_lshr_b32 s4, s26, 8
	v_add_co_ci_u32_e64 v3, null, s37, 0, s5
	s_and_b32 s5, s4, 0xff
	s_cmp_lt_i32 s5, 11
	s_cbranch_scc1 .LBB11_824
; %bb.746:
	s_and_b32 s7, 0xffff, s5
	s_mov_b32 s10, -1
	s_mov_b32 s8, 0
	s_cmp_gt_i32 s7, 25
	s_mov_b32 s9, 0
	s_mov_b32 s4, 0
	s_cbranch_scc0 .LBB11_779
; %bb.747:
	s_cmp_gt_i32 s7, 28
	s_cbranch_scc0 .LBB11_762
; %bb.748:
	s_cmp_gt_i32 s7, 43
	;; [unrolled: 3-line block ×3, first 2 shown]
	s_cbranch_scc0 .LBB11_752
; %bb.750:
	s_mov_b32 s4, -1
	s_mov_b32 s10, 0
	s_cmp_eq_u32 s7, 46
	s_cbranch_scc0 .LBB11_752
; %bb.751:
	v_cvt_f32_f64_e32 v4, v[42:43]
	s_mov_b32 s4, 0
	s_mov_b32 s9, -1
	v_bfe_u32 v5, v4, 16, 1
	v_cmp_o_f32_e32 vcc_lo, v4, v4
	v_add3_u32 v4, v4, v5, 0x7fff
	v_mov_b32_e32 v5, 0x7fc0
	v_cndmask_b32_sdwa v4, v5, v4, vcc_lo dst_sel:DWORD dst_unused:UNUSED_PAD src0_sel:DWORD src1_sel:WORD_1
	global_store_dword v[2:3], v4, off
.LBB11_752:
	s_and_b32 vcc_lo, exec_lo, s10
	s_cbranch_vccz .LBB11_757
; %bb.753:
	s_cmp_eq_u32 s7, 44
	s_mov_b32 s4, -1
	s_cbranch_scc0 .LBB11_757
; %bb.754:
	v_cvt_f32_f64_e32 v4, v[42:43]
	v_mov_b32_e32 v5, 0xff
	s_mov_b32 s9, exec_lo
	v_bfe_u32 v6, v4, 23, 8
	v_cmpx_ne_u32_e32 0xff, v6
	s_cbranch_execz .LBB11_756
; %bb.755:
	v_and_b32_e32 v5, 0x400000, v4
	v_and_or_b32 v6, 0x3fffff, v4, v6
	v_lshrrev_b32_e32 v4, 23, v4
	v_cmp_ne_u32_e32 vcc_lo, 0, v5
	v_cmp_ne_u32_e64 s4, 0, v6
	s_and_b32 s4, vcc_lo, s4
	v_cndmask_b32_e64 v5, 0, 1, s4
	v_add_nc_u32_e32 v5, v4, v5
.LBB11_756:
	s_or_b32 exec_lo, exec_lo, s9
	s_mov_b32 s4, 0
	s_mov_b32 s9, -1
	global_store_byte v[2:3], v5, off
.LBB11_757:
	s_mov_b32 s10, 0
.LBB11_758:
	s_and_b32 vcc_lo, exec_lo, s10
	s_cbranch_vccz .LBB11_761
; %bb.759:
	s_cmp_eq_u32 s7, 29
	s_mov_b32 s4, -1
	s_cbranch_scc0 .LBB11_761
; %bb.760:
	v_trunc_f64_e32 v[4:5], v[42:43]
	s_mov_b32 s4, 0
	s_mov_b32 s9, -1
	v_ldexp_f64 v[6:7], v[4:5], 0xffffffe0
	v_floor_f64_e32 v[6:7], v[6:7]
	v_fma_f64 v[4:5], 0xc1f00000, v[6:7], v[4:5]
	v_cvt_u32_f64_e32 v6, v[6:7]
	v_cvt_u32_f64_e32 v5, v[4:5]
	global_store_dwordx2 v[2:3], v[5:6], off
.LBB11_761:
	s_mov_b32 s10, 0
.LBB11_762:
	s_and_b32 vcc_lo, exec_lo, s10
	s_cbranch_vccz .LBB11_778
; %bb.763:
	s_cmp_lt_i32 s7, 27
	s_mov_b32 s9, -1
	s_cbranch_scc1 .LBB11_769
; %bb.764:
	s_cmp_gt_i32 s7, 27
	s_cbranch_scc0 .LBB11_766
; %bb.765:
	v_cvt_u32_f64_e32 v4, v[42:43]
	s_mov_b32 s9, 0
	global_store_dword v[2:3], v4, off
.LBB11_766:
	s_andn2_b32 vcc_lo, exec_lo, s9
	s_cbranch_vccnz .LBB11_768
; %bb.767:
	v_cvt_u32_f64_e32 v4, v[42:43]
	global_store_short v[2:3], v4, off
.LBB11_768:
	s_mov_b32 s9, 0
.LBB11_769:
	s_andn2_b32 vcc_lo, exec_lo, s9
	s_cbranch_vccnz .LBB11_777
; %bb.770:
	v_cvt_f32_f64_e32 v4, v[42:43]
	v_mov_b32_e32 v6, 0x80
	s_mov_b32 s9, exec_lo
	v_and_b32_e32 v5, 0x7fffffff, v4
	v_cmpx_gt_u32_e32 0x43800000, v5
	s_cbranch_execz .LBB11_776
; %bb.771:
	v_cmp_lt_u32_e32 vcc_lo, 0x3bffffff, v5
	s_mov_b32 s10, 0
                                        ; implicit-def: $vgpr5
	s_and_saveexec_b32 s11, vcc_lo
	s_xor_b32 s11, exec_lo, s11
	s_cbranch_execz .LBB11_1108
; %bb.772:
	v_bfe_u32 v5, v4, 20, 1
	s_mov_b32 s10, exec_lo
	v_add3_u32 v5, v4, v5, 0x487ffff
	v_lshrrev_b32_e32 v5, 20, v5
	s_andn2_saveexec_b32 s11, s11
	s_cbranch_execnz .LBB11_1109
.LBB11_773:
	s_or_b32 exec_lo, exec_lo, s11
	v_mov_b32_e32 v6, 0
	s_and_saveexec_b32 s11, s10
.LBB11_774:
	v_lshrrev_b32_e32 v4, 24, v4
	v_and_or_b32 v6, 0x80, v4, v5
.LBB11_775:
	s_or_b32 exec_lo, exec_lo, s11
.LBB11_776:
	s_or_b32 exec_lo, exec_lo, s9
	global_store_byte v[2:3], v6, off
.LBB11_777:
	s_mov_b32 s9, -1
.LBB11_778:
	s_mov_b32 s10, 0
.LBB11_779:
	s_and_b32 vcc_lo, exec_lo, s10
	s_cbranch_vccz .LBB11_819
; %bb.780:
	s_cmp_gt_i32 s7, 22
	s_mov_b32 s8, -1
	s_cbranch_scc0 .LBB11_812
; %bb.781:
	s_cmp_lt_i32 s7, 24
	s_cbranch_scc1 .LBB11_801
; %bb.782:
	s_cmp_gt_i32 s7, 24
	s_cbranch_scc0 .LBB11_790
; %bb.783:
	v_cvt_f32_f64_e32 v4, v[42:43]
	v_mov_b32_e32 v6, 0x80
	s_mov_b32 s8, exec_lo
	v_and_b32_e32 v5, 0x7fffffff, v4
	v_cmpx_gt_u32_e32 0x47800000, v5
	s_cbranch_execz .LBB11_789
; %bb.784:
	v_cmp_lt_u32_e32 vcc_lo, 0x37ffffff, v5
	s_mov_b32 s9, 0
                                        ; implicit-def: $vgpr5
	s_and_saveexec_b32 s10, vcc_lo
	s_xor_b32 s10, exec_lo, s10
	s_cbranch_execz .LBB11_1111
; %bb.785:
	v_bfe_u32 v5, v4, 21, 1
	s_mov_b32 s9, exec_lo
	v_add3_u32 v5, v4, v5, 0x88fffff
	v_lshrrev_b32_e32 v5, 21, v5
	s_andn2_saveexec_b32 s10, s10
	s_cbranch_execnz .LBB11_1112
.LBB11_786:
	s_or_b32 exec_lo, exec_lo, s10
	v_mov_b32_e32 v6, 0
	s_and_saveexec_b32 s10, s9
.LBB11_787:
	v_lshrrev_b32_e32 v4, 24, v4
	v_and_or_b32 v6, 0x80, v4, v5
.LBB11_788:
	s_or_b32 exec_lo, exec_lo, s10
.LBB11_789:
	s_or_b32 exec_lo, exec_lo, s8
	s_mov_b32 s8, 0
	global_store_byte v[2:3], v6, off
.LBB11_790:
	s_and_b32 vcc_lo, exec_lo, s8
	s_cbranch_vccz .LBB11_800
; %bb.791:
	v_cvt_f32_f64_e32 v4, v[42:43]
	s_mov_b32 s8, exec_lo
                                        ; implicit-def: $vgpr5
	v_and_b32_e32 v6, 0x7fffffff, v4
	v_cmpx_gt_u32_e32 0x43f00000, v6
	s_xor_b32 s8, exec_lo, s8
	s_cbranch_execz .LBB11_797
; %bb.792:
	s_mov_b32 s9, exec_lo
                                        ; implicit-def: $vgpr5
	v_cmpx_lt_u32_e32 0x3c7fffff, v6
	s_xor_b32 s9, exec_lo, s9
; %bb.793:
	v_bfe_u32 v5, v4, 20, 1
	v_add3_u32 v5, v4, v5, 0x407ffff
	v_and_b32_e32 v6, 0xff00000, v5
	v_lshrrev_b32_e32 v5, 20, v5
	v_cmp_ne_u32_e32 vcc_lo, 0x7f00000, v6
	v_cndmask_b32_e32 v5, 0x7e, v5, vcc_lo
; %bb.794:
	s_andn2_saveexec_b32 s9, s9
; %bb.795:
	v_add_f32_e64 v5, 0x46800000, |v4|
; %bb.796:
	s_or_b32 exec_lo, exec_lo, s9
                                        ; implicit-def: $vgpr6
.LBB11_797:
	s_andn2_saveexec_b32 s8, s8
; %bb.798:
	v_mov_b32_e32 v5, 0x7f
	v_cmp_lt_u32_e32 vcc_lo, 0x7f800000, v6
	v_cndmask_b32_e32 v5, 0x7e, v5, vcc_lo
; %bb.799:
	s_or_b32 exec_lo, exec_lo, s8
	v_lshrrev_b32_e32 v4, 24, v4
	v_and_or_b32 v4, 0x80, v4, v5
	global_store_byte v[2:3], v4, off
.LBB11_800:
	s_mov_b32 s8, 0
.LBB11_801:
	s_andn2_b32 vcc_lo, exec_lo, s8
	s_cbranch_vccnz .LBB11_811
; %bb.802:
	v_cvt_f32_f64_e32 v4, v[42:43]
	s_mov_b32 s8, exec_lo
                                        ; implicit-def: $vgpr5
	v_and_b32_e32 v6, 0x7fffffff, v4
	v_cmpx_gt_u32_e32 0x47800000, v6
	s_xor_b32 s8, exec_lo, s8
	s_cbranch_execz .LBB11_808
; %bb.803:
	s_mov_b32 s9, exec_lo
                                        ; implicit-def: $vgpr5
	v_cmpx_lt_u32_e32 0x387fffff, v6
	s_xor_b32 s9, exec_lo, s9
; %bb.804:
	v_bfe_u32 v5, v4, 21, 1
	v_add3_u32 v5, v4, v5, 0x80fffff
	v_lshrrev_b32_e32 v5, 21, v5
; %bb.805:
	s_andn2_saveexec_b32 s9, s9
; %bb.806:
	v_add_f32_e64 v5, 0x43000000, |v4|
; %bb.807:
	s_or_b32 exec_lo, exec_lo, s9
                                        ; implicit-def: $vgpr6
.LBB11_808:
	s_andn2_saveexec_b32 s8, s8
; %bb.809:
	v_mov_b32_e32 v5, 0x7f
	v_cmp_lt_u32_e32 vcc_lo, 0x7f800000, v6
	v_cndmask_b32_e32 v5, 0x7c, v5, vcc_lo
; %bb.810:
	s_or_b32 exec_lo, exec_lo, s8
	v_lshrrev_b32_e32 v4, 24, v4
	v_and_or_b32 v4, 0x80, v4, v5
	global_store_byte v[2:3], v4, off
.LBB11_811:
	s_mov_b32 s8, 0
	s_mov_b32 s9, -1
.LBB11_812:
	s_andn2_b32 vcc_lo, exec_lo, s8
	s_mov_b32 s8, 0
	s_cbranch_vccnz .LBB11_819
; %bb.813:
	s_cmp_gt_i32 s7, 14
	s_mov_b32 s8, -1
	s_cbranch_scc0 .LBB11_817
; %bb.814:
	s_cmp_eq_u32 s7, 15
	s_mov_b32 s4, -1
	s_cbranch_scc0 .LBB11_816
; %bb.815:
	v_cvt_f32_f64_e32 v4, v[42:43]
	s_mov_b32 s4, 0
	s_mov_b32 s9, -1
	v_bfe_u32 v5, v4, 16, 1
	v_cmp_o_f32_e32 vcc_lo, v4, v4
	v_add3_u32 v4, v4, v5, 0x7fff
	v_mov_b32_e32 v5, 0x7fc0
	v_cndmask_b32_sdwa v4, v5, v4, vcc_lo dst_sel:DWORD dst_unused:UNUSED_PAD src0_sel:DWORD src1_sel:WORD_1
	global_store_short v[2:3], v4, off
.LBB11_816:
	s_mov_b32 s8, 0
.LBB11_817:
	s_and_b32 vcc_lo, exec_lo, s8
	s_mov_b32 s8, 0
	s_cbranch_vccz .LBB11_819
; %bb.818:
	s_cmp_lg_u32 s7, 11
	s_mov_b32 s8, -1
	s_cselect_b32 s4, -1, 0
.LBB11_819:
	s_and_b32 vcc_lo, exec_lo, s4
	s_cbranch_vccnz .LBB11_1110
; %bb.820:
	s_andn2_b32 vcc_lo, exec_lo, s8
	s_cbranch_vccnz .LBB11_822
.LBB11_821:
	v_cmp_neq_f64_e32 vcc_lo, 0, v[42:43]
	s_mov_b32 s9, -1
	v_cndmask_b32_e64 v4, 0, 1, vcc_lo
	global_store_byte v[2:3], v4, off
.LBB11_822:
.LBB11_823:
	s_andn2_b32 vcc_lo, exec_lo, s9
	s_cbranch_vccz .LBB11_863
	s_branch .LBB11_1057
.LBB11_824:
	s_mov_b32 s9, 0
	s_cbranch_execz .LBB11_823
; %bb.825:
	s_and_b32 s4, 0xffff, s5
	s_mov_b32 s7, -1
	s_cmp_lt_i32 s4, 5
	s_cbranch_scc1 .LBB11_846
; %bb.826:
	s_cmp_lt_i32 s4, 8
	s_cbranch_scc1 .LBB11_836
; %bb.827:
	;; [unrolled: 3-line block ×3, first 2 shown]
	s_cmp_gt_i32 s4, 9
	s_cbranch_scc0 .LBB11_830
; %bb.829:
	v_mov_b32_e32 v44, 0
	s_mov_b32 s7, 0
	v_mov_b32_e32 v45, v44
	global_store_dwordx4 v[2:3], v[42:45], off
.LBB11_830:
	s_andn2_b32 vcc_lo, exec_lo, s7
	s_cbranch_vccnz .LBB11_832
; %bb.831:
	v_cvt_f32_f64_e32 v4, v[42:43]
	v_mov_b32_e32 v5, 0
	global_store_dwordx2 v[2:3], v[4:5], off
.LBB11_832:
	s_mov_b32 s7, 0
.LBB11_833:
	s_andn2_b32 vcc_lo, exec_lo, s7
	s_cbranch_vccnz .LBB11_835
; %bb.834:
	v_and_or_b32 v4, 0x1ff, v43, v42
	v_lshrrev_b32_e32 v5, 8, v43
	v_bfe_u32 v6, v43, 20, 11
	v_cmp_ne_u32_e32 vcc_lo, 0, v4
	v_sub_nc_u32_e32 v7, 0x3f1, v6
	v_add_nc_u32_e32 v6, 0xfffffc10, v6
	v_cndmask_b32_e64 v4, 0, 1, vcc_lo
	v_and_or_b32 v4, 0xffe, v5, v4
	v_med3_i32 v5, v7, 0, 13
	v_or_b32_e32 v7, 0x1000, v4
	v_lshrrev_b32_e32 v8, v5, v7
	v_lshlrev_b32_e32 v5, v5, v8
	v_cmp_ne_u32_e32 vcc_lo, v5, v7
	v_lshl_or_b32 v7, v6, 12, v4
	v_cndmask_b32_e64 v5, 0, 1, vcc_lo
	v_cmp_gt_i32_e32 vcc_lo, 1, v6
	v_or_b32_e32 v5, v8, v5
	v_cndmask_b32_e32 v5, v7, v5, vcc_lo
	v_and_b32_e32 v7, 7, v5
	v_lshrrev_b32_e32 v5, 2, v5
	v_cmp_lt_i32_e32 vcc_lo, 5, v7
	v_cndmask_b32_e64 v8, 0, 1, vcc_lo
	v_cmp_eq_u32_e32 vcc_lo, 3, v7
	v_cndmask_b32_e64 v7, 0, 1, vcc_lo
	v_cmp_ne_u32_e32 vcc_lo, 0, v4
	v_or_b32_e32 v7, v7, v8
	v_mov_b32_e32 v8, 0x7e00
	v_add_nc_u32_e32 v5, v5, v7
	v_cndmask_b32_e32 v4, 0x7c00, v8, vcc_lo
	v_cmp_gt_i32_e32 vcc_lo, 31, v6
	v_cndmask_b32_e32 v5, 0x7c00, v5, vcc_lo
	v_cmp_eq_u32_e32 vcc_lo, 0x40f, v6
	v_cndmask_b32_e32 v4, v5, v4, vcc_lo
	v_lshrrev_b32_e32 v5, 16, v43
	v_and_or_b32 v4, 0x8000, v5, v4
	v_and_b32_e32 v4, 0xffff, v4
	global_store_dword v[2:3], v4, off
.LBB11_835:
	s_mov_b32 s7, 0
.LBB11_836:
	s_andn2_b32 vcc_lo, exec_lo, s7
	s_cbranch_vccnz .LBB11_845
; %bb.837:
	s_cmp_lt_i32 s4, 6
	s_mov_b32 s7, -1
	s_cbranch_scc1 .LBB11_843
; %bb.838:
	s_cmp_gt_i32 s4, 6
	s_cbranch_scc0 .LBB11_840
; %bb.839:
	s_mov_b32 s7, 0
	global_store_dwordx2 v[2:3], v[42:43], off
.LBB11_840:
	s_andn2_b32 vcc_lo, exec_lo, s7
	s_cbranch_vccnz .LBB11_842
; %bb.841:
	v_cvt_f32_f64_e32 v4, v[42:43]
	global_store_dword v[2:3], v4, off
.LBB11_842:
	s_mov_b32 s7, 0
.LBB11_843:
	s_andn2_b32 vcc_lo, exec_lo, s7
	s_cbranch_vccnz .LBB11_845
; %bb.844:
	v_and_or_b32 v4, 0x1ff, v43, v42
	v_lshrrev_b32_e32 v5, 8, v43
	v_bfe_u32 v6, v43, 20, 11
	v_cmp_ne_u32_e32 vcc_lo, 0, v4
	v_sub_nc_u32_e32 v7, 0x3f1, v6
	v_add_nc_u32_e32 v6, 0xfffffc10, v6
	v_cndmask_b32_e64 v4, 0, 1, vcc_lo
	v_and_or_b32 v4, 0xffe, v5, v4
	v_med3_i32 v5, v7, 0, 13
	v_or_b32_e32 v7, 0x1000, v4
	v_lshrrev_b32_e32 v8, v5, v7
	v_lshlrev_b32_e32 v5, v5, v8
	v_cmp_ne_u32_e32 vcc_lo, v5, v7
	v_lshl_or_b32 v7, v6, 12, v4
	v_cndmask_b32_e64 v5, 0, 1, vcc_lo
	v_cmp_gt_i32_e32 vcc_lo, 1, v6
	v_or_b32_e32 v5, v8, v5
	v_cndmask_b32_e32 v5, v7, v5, vcc_lo
	v_and_b32_e32 v7, 7, v5
	v_lshrrev_b32_e32 v5, 2, v5
	v_cmp_lt_i32_e32 vcc_lo, 5, v7
	v_cndmask_b32_e64 v8, 0, 1, vcc_lo
	v_cmp_eq_u32_e32 vcc_lo, 3, v7
	v_cndmask_b32_e64 v7, 0, 1, vcc_lo
	v_cmp_ne_u32_e32 vcc_lo, 0, v4
	v_or_b32_e32 v7, v7, v8
	v_mov_b32_e32 v8, 0x7e00
	v_add_nc_u32_e32 v5, v5, v7
	v_cndmask_b32_e32 v4, 0x7c00, v8, vcc_lo
	v_cmp_gt_i32_e32 vcc_lo, 31, v6
	v_cndmask_b32_e32 v5, 0x7c00, v5, vcc_lo
	v_cmp_eq_u32_e32 vcc_lo, 0x40f, v6
	v_cndmask_b32_e32 v4, v5, v4, vcc_lo
	v_lshrrev_b32_e32 v5, 16, v43
	v_and_or_b32 v4, 0x8000, v5, v4
	global_store_short v[2:3], v4, off
.LBB11_845:
	s_mov_b32 s7, 0
.LBB11_846:
	s_andn2_b32 vcc_lo, exec_lo, s7
	s_cbranch_vccnz .LBB11_862
; %bb.847:
	s_cmp_lt_i32 s4, 2
	s_mov_b32 s7, -1
	s_cbranch_scc1 .LBB11_857
; %bb.848:
	s_cmp_lt_i32 s4, 3
	s_cbranch_scc1 .LBB11_854
; %bb.849:
	s_cmp_gt_i32 s4, 3
	s_cbranch_scc0 .LBB11_851
; %bb.850:
	v_trunc_f64_e32 v[4:5], v[42:43]
	s_mov_b32 s7, 0
	v_ldexp_f64 v[6:7], v[4:5], 0xffffffe0
	v_floor_f64_e32 v[6:7], v[6:7]
	v_fma_f64 v[4:5], 0xc1f00000, v[6:7], v[4:5]
	v_cvt_i32_f64_e32 v6, v[6:7]
	v_cvt_u32_f64_e32 v5, v[4:5]
	global_store_dwordx2 v[2:3], v[5:6], off
.LBB11_851:
	s_andn2_b32 vcc_lo, exec_lo, s7
	s_cbranch_vccnz .LBB11_853
; %bb.852:
	v_cvt_i32_f64_e32 v4, v[42:43]
	global_store_dword v[2:3], v4, off
.LBB11_853:
	s_mov_b32 s7, 0
.LBB11_854:
	s_andn2_b32 vcc_lo, exec_lo, s7
	s_cbranch_vccnz .LBB11_856
; %bb.855:
	v_cvt_i32_f64_e32 v4, v[42:43]
	global_store_short v[2:3], v4, off
.LBB11_856:
	s_mov_b32 s7, 0
.LBB11_857:
	s_andn2_b32 vcc_lo, exec_lo, s7
	s_cbranch_vccnz .LBB11_862
; %bb.858:
	s_cmp_gt_i32 s4, 0
	s_mov_b32 s4, -1
	s_cbranch_scc0 .LBB11_860
; %bb.859:
	v_cvt_i32_f64_e32 v4, v[42:43]
	s_mov_b32 s4, 0
	global_store_byte v[2:3], v4, off
.LBB11_860:
	s_andn2_b32 vcc_lo, exec_lo, s4
	s_cbranch_vccnz .LBB11_862
; %bb.861:
	v_trunc_f64_e32 v[4:5], v[42:43]
	v_ldexp_f64 v[6:7], v[4:5], 0xffffffe0
	v_floor_f64_e32 v[6:7], v[6:7]
	v_fma_f64 v[4:5], 0xc1f00000, v[6:7], v[4:5]
	v_cvt_u32_f64_e32 v4, v[4:5]
	global_store_byte v[2:3], v4, off
.LBB11_862:
.LBB11_863:
	v_add_co_u32 v2, s4, s36, v58
	v_add_co_ci_u32_e64 v3, null, s37, 0, s4
	s_cmp_lt_i32 s5, 11
	s_cbranch_scc1 .LBB11_1018
; %bb.864:
	s_and_b32 s7, 0xffff, s5
	s_mov_b32 s10, -1
	s_mov_b32 s8, 0
	s_cmp_gt_i32 s7, 25
	s_mov_b32 s9, 0
	s_mov_b32 s4, 0
	s_cbranch_scc0 .LBB11_897
; %bb.865:
	s_cmp_gt_i32 s7, 28
	s_cbranch_scc0 .LBB11_880
; %bb.866:
	s_cmp_gt_i32 s7, 43
	;; [unrolled: 3-line block ×3, first 2 shown]
	s_cbranch_scc0 .LBB11_870
; %bb.868:
	s_mov_b32 s4, -1
	s_mov_b32 s10, 0
	s_cmp_eq_u32 s7, 46
	s_cbranch_scc0 .LBB11_870
; %bb.869:
	v_cvt_f32_f64_e32 v4, v[40:41]
	s_mov_b32 s4, 0
	s_mov_b32 s9, -1
	v_bfe_u32 v5, v4, 16, 1
	v_cmp_o_f32_e32 vcc_lo, v4, v4
	v_add3_u32 v4, v4, v5, 0x7fff
	v_mov_b32_e32 v5, 0x7fc0
	v_cndmask_b32_sdwa v4, v5, v4, vcc_lo dst_sel:DWORD dst_unused:UNUSED_PAD src0_sel:DWORD src1_sel:WORD_1
	global_store_dword v[2:3], v4, off
.LBB11_870:
	s_and_b32 vcc_lo, exec_lo, s10
	s_cbranch_vccz .LBB11_875
; %bb.871:
	s_cmp_eq_u32 s7, 44
	s_mov_b32 s4, -1
	s_cbranch_scc0 .LBB11_875
; %bb.872:
	v_cvt_f32_f64_e32 v4, v[40:41]
	v_mov_b32_e32 v5, 0xff
	s_mov_b32 s9, exec_lo
	v_bfe_u32 v6, v4, 23, 8
	v_cmpx_ne_u32_e32 0xff, v6
	s_cbranch_execz .LBB11_874
; %bb.873:
	v_and_b32_e32 v5, 0x400000, v4
	v_and_or_b32 v6, 0x3fffff, v4, v6
	v_lshrrev_b32_e32 v4, 23, v4
	v_cmp_ne_u32_e32 vcc_lo, 0, v5
	v_cmp_ne_u32_e64 s4, 0, v6
	s_and_b32 s4, vcc_lo, s4
	v_cndmask_b32_e64 v5, 0, 1, s4
	v_add_nc_u32_e32 v5, v4, v5
.LBB11_874:
	s_or_b32 exec_lo, exec_lo, s9
	s_mov_b32 s4, 0
	s_mov_b32 s9, -1
	global_store_byte v[2:3], v5, off
.LBB11_875:
	s_mov_b32 s10, 0
.LBB11_876:
	s_and_b32 vcc_lo, exec_lo, s10
	s_cbranch_vccz .LBB11_879
; %bb.877:
	s_cmp_eq_u32 s7, 29
	s_mov_b32 s4, -1
	s_cbranch_scc0 .LBB11_879
; %bb.878:
	v_trunc_f64_e32 v[4:5], v[40:41]
	s_mov_b32 s4, 0
	s_mov_b32 s9, -1
	v_ldexp_f64 v[6:7], v[4:5], 0xffffffe0
	v_floor_f64_e32 v[6:7], v[6:7]
	v_fma_f64 v[4:5], 0xc1f00000, v[6:7], v[4:5]
	v_cvt_u32_f64_e32 v6, v[6:7]
	v_cvt_u32_f64_e32 v5, v[4:5]
	global_store_dwordx2 v[2:3], v[5:6], off
.LBB11_879:
	s_mov_b32 s10, 0
.LBB11_880:
	s_and_b32 vcc_lo, exec_lo, s10
	s_cbranch_vccz .LBB11_896
; %bb.881:
	s_cmp_lt_i32 s7, 27
	s_mov_b32 s9, -1
	s_cbranch_scc1 .LBB11_887
; %bb.882:
	v_cvt_u32_f64_e32 v4, v[40:41]
	s_cmp_gt_i32 s7, 27
	s_cbranch_scc0 .LBB11_884
; %bb.883:
	s_mov_b32 s9, 0
	global_store_dword v[2:3], v4, off
.LBB11_884:
	s_andn2_b32 vcc_lo, exec_lo, s9
	s_cbranch_vccnz .LBB11_886
; %bb.885:
	global_store_short v[2:3], v4, off
.LBB11_886:
	s_mov_b32 s9, 0
.LBB11_887:
	s_andn2_b32 vcc_lo, exec_lo, s9
	s_cbranch_vccnz .LBB11_895
; %bb.888:
	v_cvt_f32_f64_e32 v4, v[40:41]
	v_mov_b32_e32 v6, 0x80
	s_mov_b32 s9, exec_lo
	v_and_b32_e32 v5, 0x7fffffff, v4
	v_cmpx_gt_u32_e32 0x43800000, v5
	s_cbranch_execz .LBB11_894
; %bb.889:
	v_cmp_lt_u32_e32 vcc_lo, 0x3bffffff, v5
	s_mov_b32 s10, 0
                                        ; implicit-def: $vgpr5
	s_and_saveexec_b32 s11, vcc_lo
	s_xor_b32 s11, exec_lo, s11
	s_cbranch_execz .LBB11_1113
; %bb.890:
	v_bfe_u32 v5, v4, 20, 1
	s_mov_b32 s10, exec_lo
	v_add3_u32 v5, v4, v5, 0x487ffff
	v_lshrrev_b32_e32 v5, 20, v5
	s_andn2_saveexec_b32 s11, s11
	s_cbranch_execnz .LBB11_1114
.LBB11_891:
	s_or_b32 exec_lo, exec_lo, s11
	v_mov_b32_e32 v6, 0
	s_and_saveexec_b32 s11, s10
.LBB11_892:
	v_lshrrev_b32_e32 v4, 24, v4
	v_and_or_b32 v6, 0x80, v4, v5
.LBB11_893:
	s_or_b32 exec_lo, exec_lo, s11
.LBB11_894:
	s_or_b32 exec_lo, exec_lo, s9
	global_store_byte v[2:3], v6, off
.LBB11_895:
	s_mov_b32 s9, -1
.LBB11_896:
	s_mov_b32 s10, 0
.LBB11_897:
	s_and_b32 vcc_lo, exec_lo, s10
	s_cbranch_vccz .LBB11_937
; %bb.898:
	s_cmp_gt_i32 s7, 22
	s_mov_b32 s8, -1
	s_cbranch_scc0 .LBB11_930
; %bb.899:
	s_cmp_lt_i32 s7, 24
	s_cbranch_scc1 .LBB11_919
; %bb.900:
	s_cmp_gt_i32 s7, 24
	s_cbranch_scc0 .LBB11_908
; %bb.901:
	v_cvt_f32_f64_e32 v4, v[40:41]
	v_mov_b32_e32 v6, 0x80
	s_mov_b32 s8, exec_lo
	v_and_b32_e32 v5, 0x7fffffff, v4
	v_cmpx_gt_u32_e32 0x47800000, v5
	s_cbranch_execz .LBB11_907
; %bb.902:
	v_cmp_lt_u32_e32 vcc_lo, 0x37ffffff, v5
	s_mov_b32 s9, 0
                                        ; implicit-def: $vgpr5
	s_and_saveexec_b32 s10, vcc_lo
	s_xor_b32 s10, exec_lo, s10
	s_cbranch_execz .LBB11_1116
; %bb.903:
	v_bfe_u32 v5, v4, 21, 1
	s_mov_b32 s9, exec_lo
	v_add3_u32 v5, v4, v5, 0x88fffff
	v_lshrrev_b32_e32 v5, 21, v5
	s_andn2_saveexec_b32 s10, s10
	s_cbranch_execnz .LBB11_1117
.LBB11_904:
	s_or_b32 exec_lo, exec_lo, s10
	v_mov_b32_e32 v6, 0
	s_and_saveexec_b32 s10, s9
.LBB11_905:
	v_lshrrev_b32_e32 v4, 24, v4
	v_and_or_b32 v6, 0x80, v4, v5
.LBB11_906:
	s_or_b32 exec_lo, exec_lo, s10
.LBB11_907:
	s_or_b32 exec_lo, exec_lo, s8
	s_mov_b32 s8, 0
	global_store_byte v[2:3], v6, off
.LBB11_908:
	s_and_b32 vcc_lo, exec_lo, s8
	s_cbranch_vccz .LBB11_918
; %bb.909:
	v_cvt_f32_f64_e32 v4, v[40:41]
	s_mov_b32 s8, exec_lo
                                        ; implicit-def: $vgpr5
	v_and_b32_e32 v6, 0x7fffffff, v4
	v_cmpx_gt_u32_e32 0x43f00000, v6
	s_xor_b32 s8, exec_lo, s8
	s_cbranch_execz .LBB11_915
; %bb.910:
	s_mov_b32 s9, exec_lo
                                        ; implicit-def: $vgpr5
	v_cmpx_lt_u32_e32 0x3c7fffff, v6
	s_xor_b32 s9, exec_lo, s9
; %bb.911:
	v_bfe_u32 v5, v4, 20, 1
	v_add3_u32 v5, v4, v5, 0x407ffff
	v_and_b32_e32 v6, 0xff00000, v5
	v_lshrrev_b32_e32 v5, 20, v5
	v_cmp_ne_u32_e32 vcc_lo, 0x7f00000, v6
	v_cndmask_b32_e32 v5, 0x7e, v5, vcc_lo
; %bb.912:
	s_andn2_saveexec_b32 s9, s9
; %bb.913:
	v_add_f32_e64 v5, 0x46800000, |v4|
; %bb.914:
	s_or_b32 exec_lo, exec_lo, s9
                                        ; implicit-def: $vgpr6
.LBB11_915:
	s_andn2_saveexec_b32 s8, s8
; %bb.916:
	v_mov_b32_e32 v5, 0x7f
	v_cmp_lt_u32_e32 vcc_lo, 0x7f800000, v6
	v_cndmask_b32_e32 v5, 0x7e, v5, vcc_lo
; %bb.917:
	s_or_b32 exec_lo, exec_lo, s8
	v_lshrrev_b32_e32 v4, 24, v4
	v_and_or_b32 v4, 0x80, v4, v5
	global_store_byte v[2:3], v4, off
.LBB11_918:
	s_mov_b32 s8, 0
.LBB11_919:
	s_andn2_b32 vcc_lo, exec_lo, s8
	s_cbranch_vccnz .LBB11_929
; %bb.920:
	v_cvt_f32_f64_e32 v4, v[40:41]
	s_mov_b32 s8, exec_lo
                                        ; implicit-def: $vgpr5
	v_and_b32_e32 v6, 0x7fffffff, v4
	v_cmpx_gt_u32_e32 0x47800000, v6
	s_xor_b32 s8, exec_lo, s8
	s_cbranch_execz .LBB11_926
; %bb.921:
	s_mov_b32 s9, exec_lo
                                        ; implicit-def: $vgpr5
	v_cmpx_lt_u32_e32 0x387fffff, v6
	s_xor_b32 s9, exec_lo, s9
; %bb.922:
	v_bfe_u32 v5, v4, 21, 1
	v_add3_u32 v5, v4, v5, 0x80fffff
	v_lshrrev_b32_e32 v5, 21, v5
; %bb.923:
	s_andn2_saveexec_b32 s9, s9
; %bb.924:
	v_add_f32_e64 v5, 0x43000000, |v4|
; %bb.925:
	s_or_b32 exec_lo, exec_lo, s9
                                        ; implicit-def: $vgpr6
.LBB11_926:
	s_andn2_saveexec_b32 s8, s8
; %bb.927:
	v_mov_b32_e32 v5, 0x7f
	v_cmp_lt_u32_e32 vcc_lo, 0x7f800000, v6
	v_cndmask_b32_e32 v5, 0x7c, v5, vcc_lo
; %bb.928:
	s_or_b32 exec_lo, exec_lo, s8
	v_lshrrev_b32_e32 v4, 24, v4
	v_and_or_b32 v4, 0x80, v4, v5
	global_store_byte v[2:3], v4, off
.LBB11_929:
	s_mov_b32 s8, 0
	s_mov_b32 s9, -1
.LBB11_930:
	s_andn2_b32 vcc_lo, exec_lo, s8
	s_mov_b32 s8, 0
	s_cbranch_vccnz .LBB11_937
; %bb.931:
	s_cmp_gt_i32 s7, 14
	s_mov_b32 s8, -1
	s_cbranch_scc0 .LBB11_935
; %bb.932:
	s_cmp_eq_u32 s7, 15
	s_mov_b32 s4, -1
	s_cbranch_scc0 .LBB11_934
; %bb.933:
	v_cvt_f32_f64_e32 v4, v[40:41]
	s_mov_b32 s4, 0
	s_mov_b32 s9, -1
	v_bfe_u32 v5, v4, 16, 1
	v_cmp_o_f32_e32 vcc_lo, v4, v4
	v_add3_u32 v4, v4, v5, 0x7fff
	v_mov_b32_e32 v5, 0x7fc0
	v_cndmask_b32_sdwa v4, v5, v4, vcc_lo dst_sel:DWORD dst_unused:UNUSED_PAD src0_sel:DWORD src1_sel:WORD_1
	global_store_short v[2:3], v4, off
.LBB11_934:
	s_mov_b32 s8, 0
.LBB11_935:
	s_and_b32 vcc_lo, exec_lo, s8
	s_mov_b32 s8, 0
	s_cbranch_vccz .LBB11_937
; %bb.936:
	s_cmp_lg_u32 s7, 11
	s_mov_b32 s8, -1
	s_cselect_b32 s4, -1, 0
.LBB11_937:
	s_and_b32 vcc_lo, exec_lo, s4
	s_cbranch_vccnz .LBB11_1115
; %bb.938:
	s_andn2_b32 vcc_lo, exec_lo, s8
	s_cbranch_vccnz .LBB11_940
.LBB11_939:
	v_cmp_neq_f64_e32 vcc_lo, 0, v[40:41]
	s_mov_b32 s9, -1
	v_cndmask_b32_e64 v4, 0, 1, vcc_lo
	global_store_byte v[2:3], v4, off
.LBB11_940:
.LBB11_941:
	s_andn2_b32 vcc_lo, exec_lo, s9
	s_cbranch_vccnz .LBB11_1057
.LBB11_942:
	v_add_co_u32 v4, s4, s36, v56
	v_add_co_ci_u32_e64 v5, null, s37, 0, s4
	s_cmp_lt_i32 s5, 11
	s_cbranch_scc1 .LBB11_1102
; %bb.943:
	s_and_b32 s7, 0xffff, s5
	s_mov_b32 s9, -1
	s_mov_b32 s8, 0
	s_cmp_gt_i32 s7, 25
	s_mov_b32 s4, 0
	s_cbranch_scc0 .LBB11_976
; %bb.944:
	s_cmp_gt_i32 s7, 28
	s_cbranch_scc0 .LBB11_960
; %bb.945:
	s_cmp_gt_i32 s7, 43
	;; [unrolled: 3-line block ×3, first 2 shown]
	s_cbranch_scc0 .LBB11_950
; %bb.947:
	s_cmp_eq_u32 s7, 46
	s_mov_b32 s4, -1
	s_cbranch_scc0 .LBB11_949
; %bb.948:
	v_cvt_f32_f64_e32 v2, v[0:1]
	s_mov_b32 s4, 0
	v_bfe_u32 v3, v2, 16, 1
	v_cmp_o_f32_e32 vcc_lo, v2, v2
	v_add3_u32 v2, v2, v3, 0x7fff
	v_mov_b32_e32 v3, 0x7fc0
	v_cndmask_b32_sdwa v2, v3, v2, vcc_lo dst_sel:DWORD dst_unused:UNUSED_PAD src0_sel:DWORD src1_sel:WORD_1
	global_store_dword v[4:5], v2, off
.LBB11_949:
	s_mov_b32 s9, 0
.LBB11_950:
	s_and_b32 vcc_lo, exec_lo, s9
	s_cbranch_vccz .LBB11_955
; %bb.951:
	s_cmp_eq_u32 s7, 44
	s_mov_b32 s4, -1
	s_cbranch_scc0 .LBB11_955
; %bb.952:
	v_cvt_f32_f64_e32 v2, v[0:1]
	v_mov_b32_e32 v3, 0xff
	s_mov_b32 s9, exec_lo
	v_bfe_u32 v6, v2, 23, 8
	v_cmpx_ne_u32_e32 0xff, v6
	s_cbranch_execz .LBB11_954
; %bb.953:
	v_and_b32_e32 v3, 0x400000, v2
	v_and_or_b32 v6, 0x3fffff, v2, v6
	v_lshrrev_b32_e32 v2, 23, v2
	v_cmp_ne_u32_e32 vcc_lo, 0, v3
	v_cmp_ne_u32_e64 s4, 0, v6
	s_and_b32 s4, vcc_lo, s4
	v_cndmask_b32_e64 v3, 0, 1, s4
	v_add_nc_u32_e32 v3, v2, v3
.LBB11_954:
	s_or_b32 exec_lo, exec_lo, s9
	s_mov_b32 s4, 0
	global_store_byte v[4:5], v3, off
.LBB11_955:
	s_mov_b32 s9, 0
.LBB11_956:
	s_and_b32 vcc_lo, exec_lo, s9
	s_cbranch_vccz .LBB11_959
; %bb.957:
	s_cmp_eq_u32 s7, 29
	s_mov_b32 s4, -1
	s_cbranch_scc0 .LBB11_959
; %bb.958:
	v_trunc_f64_e32 v[2:3], v[0:1]
	s_mov_b32 s4, 0
	v_ldexp_f64 v[6:7], v[2:3], 0xffffffe0
	v_floor_f64_e32 v[6:7], v[6:7]
	v_fma_f64 v[2:3], 0xc1f00000, v[6:7], v[2:3]
	v_cvt_u32_f64_e32 v7, v[6:7]
	v_cvt_u32_f64_e32 v6, v[2:3]
	global_store_dwordx2 v[4:5], v[6:7], off
.LBB11_959:
	s_mov_b32 s9, 0
.LBB11_960:
	s_and_b32 vcc_lo, exec_lo, s9
	s_cbranch_vccz .LBB11_975
; %bb.961:
	s_cmp_lt_i32 s7, 27
	s_mov_b32 s9, -1
	s_cbranch_scc1 .LBB11_967
; %bb.962:
	v_cvt_u32_f64_e32 v2, v[0:1]
	s_cmp_gt_i32 s7, 27
	s_cbranch_scc0 .LBB11_964
; %bb.963:
	s_mov_b32 s9, 0
	global_store_dword v[4:5], v2, off
.LBB11_964:
	s_andn2_b32 vcc_lo, exec_lo, s9
	s_cbranch_vccnz .LBB11_966
; %bb.965:
	global_store_short v[4:5], v2, off
.LBB11_966:
	s_mov_b32 s9, 0
.LBB11_967:
	s_andn2_b32 vcc_lo, exec_lo, s9
	s_cbranch_vccnz .LBB11_975
; %bb.968:
	v_cvt_f32_f64_e32 v2, v[0:1]
	v_mov_b32_e32 v6, 0x80
	s_mov_b32 s9, exec_lo
	v_and_b32_e32 v3, 0x7fffffff, v2
	v_cmpx_gt_u32_e32 0x43800000, v3
	s_cbranch_execz .LBB11_974
; %bb.969:
	v_cmp_lt_u32_e32 vcc_lo, 0x3bffffff, v3
	s_mov_b32 s10, 0
                                        ; implicit-def: $vgpr3
	s_and_saveexec_b32 s11, vcc_lo
	s_xor_b32 s11, exec_lo, s11
	s_cbranch_execz .LBB11_1118
; %bb.970:
	v_bfe_u32 v3, v2, 20, 1
	s_mov_b32 s10, exec_lo
	v_add3_u32 v3, v2, v3, 0x487ffff
	v_lshrrev_b32_e32 v3, 20, v3
	s_andn2_saveexec_b32 s11, s11
	s_cbranch_execnz .LBB11_1119
.LBB11_971:
	s_or_b32 exec_lo, exec_lo, s11
	v_mov_b32_e32 v6, 0
	s_and_saveexec_b32 s11, s10
.LBB11_972:
	v_lshrrev_b32_e32 v2, 24, v2
	v_and_or_b32 v6, 0x80, v2, v3
.LBB11_973:
	s_or_b32 exec_lo, exec_lo, s11
.LBB11_974:
	s_or_b32 exec_lo, exec_lo, s9
	global_store_byte v[4:5], v6, off
.LBB11_975:
	s_mov_b32 s9, 0
.LBB11_976:
	s_and_b32 vcc_lo, exec_lo, s9
	s_cbranch_vccz .LBB11_1016
; %bb.977:
	s_cmp_gt_i32 s7, 22
	s_mov_b32 s8, -1
	s_cbranch_scc0 .LBB11_1009
; %bb.978:
	s_cmp_lt_i32 s7, 24
	s_cbranch_scc1 .LBB11_998
; %bb.979:
	s_cmp_gt_i32 s7, 24
	s_cbranch_scc0 .LBB11_987
; %bb.980:
	v_cvt_f32_f64_e32 v2, v[0:1]
	v_mov_b32_e32 v6, 0x80
	s_mov_b32 s8, exec_lo
	v_and_b32_e32 v3, 0x7fffffff, v2
	v_cmpx_gt_u32_e32 0x47800000, v3
	s_cbranch_execz .LBB11_986
; %bb.981:
	v_cmp_lt_u32_e32 vcc_lo, 0x37ffffff, v3
	s_mov_b32 s9, 0
                                        ; implicit-def: $vgpr3
	s_and_saveexec_b32 s10, vcc_lo
	s_xor_b32 s10, exec_lo, s10
	s_cbranch_execz .LBB11_1123
; %bb.982:
	v_bfe_u32 v3, v2, 21, 1
	s_mov_b32 s9, exec_lo
	v_add3_u32 v3, v2, v3, 0x88fffff
	v_lshrrev_b32_e32 v3, 21, v3
	s_andn2_saveexec_b32 s10, s10
	s_cbranch_execnz .LBB11_1124
.LBB11_983:
	s_or_b32 exec_lo, exec_lo, s10
	v_mov_b32_e32 v6, 0
	s_and_saveexec_b32 s10, s9
.LBB11_984:
	v_lshrrev_b32_e32 v2, 24, v2
	v_and_or_b32 v6, 0x80, v2, v3
.LBB11_985:
	s_or_b32 exec_lo, exec_lo, s10
.LBB11_986:
	s_or_b32 exec_lo, exec_lo, s8
	s_mov_b32 s8, 0
	global_store_byte v[4:5], v6, off
.LBB11_987:
	s_and_b32 vcc_lo, exec_lo, s8
	s_cbranch_vccz .LBB11_997
; %bb.988:
	v_cvt_f32_f64_e32 v2, v[0:1]
	s_mov_b32 s8, exec_lo
                                        ; implicit-def: $vgpr3
	v_and_b32_e32 v6, 0x7fffffff, v2
	v_cmpx_gt_u32_e32 0x43f00000, v6
	s_xor_b32 s8, exec_lo, s8
	s_cbranch_execz .LBB11_994
; %bb.989:
	s_mov_b32 s9, exec_lo
                                        ; implicit-def: $vgpr3
	v_cmpx_lt_u32_e32 0x3c7fffff, v6
	s_xor_b32 s9, exec_lo, s9
; %bb.990:
	v_bfe_u32 v3, v2, 20, 1
	v_add3_u32 v3, v2, v3, 0x407ffff
	v_and_b32_e32 v6, 0xff00000, v3
	v_lshrrev_b32_e32 v3, 20, v3
	v_cmp_ne_u32_e32 vcc_lo, 0x7f00000, v6
	v_cndmask_b32_e32 v3, 0x7e, v3, vcc_lo
; %bb.991:
	s_andn2_saveexec_b32 s9, s9
; %bb.992:
	v_add_f32_e64 v3, 0x46800000, |v2|
; %bb.993:
	s_or_b32 exec_lo, exec_lo, s9
                                        ; implicit-def: $vgpr6
.LBB11_994:
	s_andn2_saveexec_b32 s8, s8
; %bb.995:
	v_mov_b32_e32 v3, 0x7f
	v_cmp_lt_u32_e32 vcc_lo, 0x7f800000, v6
	v_cndmask_b32_e32 v3, 0x7e, v3, vcc_lo
; %bb.996:
	s_or_b32 exec_lo, exec_lo, s8
	v_lshrrev_b32_e32 v2, 24, v2
	v_and_or_b32 v2, 0x80, v2, v3
	global_store_byte v[4:5], v2, off
.LBB11_997:
	s_mov_b32 s8, 0
.LBB11_998:
	s_andn2_b32 vcc_lo, exec_lo, s8
	s_cbranch_vccnz .LBB11_1008
; %bb.999:
	v_cvt_f32_f64_e32 v2, v[0:1]
	s_mov_b32 s8, exec_lo
                                        ; implicit-def: $vgpr3
	v_and_b32_e32 v6, 0x7fffffff, v2
	v_cmpx_gt_u32_e32 0x47800000, v6
	s_xor_b32 s8, exec_lo, s8
	s_cbranch_execz .LBB11_1005
; %bb.1000:
	s_mov_b32 s9, exec_lo
                                        ; implicit-def: $vgpr3
	v_cmpx_lt_u32_e32 0x387fffff, v6
	s_xor_b32 s9, exec_lo, s9
; %bb.1001:
	v_bfe_u32 v3, v2, 21, 1
	v_add3_u32 v3, v2, v3, 0x80fffff
	v_lshrrev_b32_e32 v3, 21, v3
; %bb.1002:
	s_andn2_saveexec_b32 s9, s9
; %bb.1003:
	v_add_f32_e64 v3, 0x43000000, |v2|
; %bb.1004:
	s_or_b32 exec_lo, exec_lo, s9
                                        ; implicit-def: $vgpr6
.LBB11_1005:
	s_andn2_saveexec_b32 s8, s8
; %bb.1006:
	v_mov_b32_e32 v3, 0x7f
	v_cmp_lt_u32_e32 vcc_lo, 0x7f800000, v6
	v_cndmask_b32_e32 v3, 0x7c, v3, vcc_lo
; %bb.1007:
	s_or_b32 exec_lo, exec_lo, s8
	v_lshrrev_b32_e32 v2, 24, v2
	v_and_or_b32 v2, 0x80, v2, v3
	global_store_byte v[4:5], v2, off
.LBB11_1008:
	s_mov_b32 s8, 0
.LBB11_1009:
	s_andn2_b32 vcc_lo, exec_lo, s8
	s_mov_b32 s8, 0
	s_cbranch_vccnz .LBB11_1016
; %bb.1010:
	s_cmp_gt_i32 s7, 14
	s_mov_b32 s8, -1
	s_cbranch_scc0 .LBB11_1014
; %bb.1011:
	s_cmp_eq_u32 s7, 15
	s_mov_b32 s4, -1
	s_cbranch_scc0 .LBB11_1013
; %bb.1012:
	v_cvt_f32_f64_e32 v2, v[0:1]
	s_mov_b32 s4, 0
	v_bfe_u32 v3, v2, 16, 1
	v_cmp_o_f32_e32 vcc_lo, v2, v2
	v_add3_u32 v2, v2, v3, 0x7fff
	v_mov_b32_e32 v3, 0x7fc0
	v_cndmask_b32_sdwa v2, v3, v2, vcc_lo dst_sel:DWORD dst_unused:UNUSED_PAD src0_sel:DWORD src1_sel:WORD_1
	global_store_short v[4:5], v2, off
.LBB11_1013:
	s_mov_b32 s8, 0
.LBB11_1014:
	s_and_b32 vcc_lo, exec_lo, s8
	s_mov_b32 s8, 0
	s_cbranch_vccz .LBB11_1016
; %bb.1015:
	s_cmp_lg_u32 s7, 11
	s_mov_b32 s8, -1
	s_cselect_b32 s4, -1, 0
.LBB11_1016:
	s_and_b32 vcc_lo, exec_lo, s4
	s_cbranch_vccnz .LBB11_1120
.LBB11_1017:
	s_mov_b32 s4, 0
	s_branch .LBB11_1058
.LBB11_1018:
	s_mov_b32 s9, 0
	s_cbranch_execz .LBB11_941
; %bb.1019:
	s_and_b32 s4, 0xffff, s5
	s_mov_b32 s7, -1
	s_cmp_lt_i32 s4, 5
	s_cbranch_scc1 .LBB11_1040
; %bb.1020:
	s_cmp_lt_i32 s4, 8
	s_cbranch_scc1 .LBB11_1030
; %bb.1021:
	;; [unrolled: 3-line block ×3, first 2 shown]
	s_cmp_gt_i32 s4, 9
	s_cbranch_scc0 .LBB11_1024
; %bb.1023:
	v_mov_b32_e32 v42, 0
	s_mov_b32 s7, 0
	v_mov_b32_e32 v43, v42
	global_store_dwordx4 v[2:3], v[40:43], off
.LBB11_1024:
	s_andn2_b32 vcc_lo, exec_lo, s7
	s_cbranch_vccnz .LBB11_1026
; %bb.1025:
	v_cvt_f32_f64_e32 v4, v[40:41]
	v_mov_b32_e32 v5, 0
	global_store_dwordx2 v[2:3], v[4:5], off
.LBB11_1026:
	s_mov_b32 s7, 0
.LBB11_1027:
	s_andn2_b32 vcc_lo, exec_lo, s7
	s_cbranch_vccnz .LBB11_1029
; %bb.1028:
	v_and_or_b32 v4, 0x1ff, v41, v40
	v_lshrrev_b32_e32 v5, 8, v41
	v_bfe_u32 v6, v41, 20, 11
	v_cmp_ne_u32_e32 vcc_lo, 0, v4
	v_sub_nc_u32_e32 v7, 0x3f1, v6
	v_add_nc_u32_e32 v6, 0xfffffc10, v6
	v_cndmask_b32_e64 v4, 0, 1, vcc_lo
	v_and_or_b32 v4, 0xffe, v5, v4
	v_med3_i32 v5, v7, 0, 13
	v_or_b32_e32 v7, 0x1000, v4
	v_lshrrev_b32_e32 v8, v5, v7
	v_lshlrev_b32_e32 v5, v5, v8
	v_cmp_ne_u32_e32 vcc_lo, v5, v7
	v_lshl_or_b32 v7, v6, 12, v4
	v_cndmask_b32_e64 v5, 0, 1, vcc_lo
	v_cmp_gt_i32_e32 vcc_lo, 1, v6
	v_or_b32_e32 v5, v8, v5
	v_cndmask_b32_e32 v5, v7, v5, vcc_lo
	v_and_b32_e32 v7, 7, v5
	v_lshrrev_b32_e32 v5, 2, v5
	v_cmp_lt_i32_e32 vcc_lo, 5, v7
	v_cndmask_b32_e64 v8, 0, 1, vcc_lo
	v_cmp_eq_u32_e32 vcc_lo, 3, v7
	v_cndmask_b32_e64 v7, 0, 1, vcc_lo
	v_cmp_ne_u32_e32 vcc_lo, 0, v4
	v_or_b32_e32 v7, v7, v8
	v_mov_b32_e32 v8, 0x7e00
	v_add_nc_u32_e32 v5, v5, v7
	v_cndmask_b32_e32 v4, 0x7c00, v8, vcc_lo
	v_cmp_gt_i32_e32 vcc_lo, 31, v6
	v_cndmask_b32_e32 v5, 0x7c00, v5, vcc_lo
	v_cmp_eq_u32_e32 vcc_lo, 0x40f, v6
	v_cndmask_b32_e32 v4, v5, v4, vcc_lo
	v_lshrrev_b32_e32 v5, 16, v41
	v_and_or_b32 v4, 0x8000, v5, v4
	v_and_b32_e32 v4, 0xffff, v4
	global_store_dword v[2:3], v4, off
.LBB11_1029:
	s_mov_b32 s7, 0
.LBB11_1030:
	s_andn2_b32 vcc_lo, exec_lo, s7
	s_cbranch_vccnz .LBB11_1039
; %bb.1031:
	s_cmp_lt_i32 s4, 6
	s_mov_b32 s7, -1
	s_cbranch_scc1 .LBB11_1037
; %bb.1032:
	s_cmp_gt_i32 s4, 6
	s_cbranch_scc0 .LBB11_1034
; %bb.1033:
	s_mov_b32 s7, 0
	global_store_dwordx2 v[2:3], v[40:41], off
.LBB11_1034:
	s_andn2_b32 vcc_lo, exec_lo, s7
	s_cbranch_vccnz .LBB11_1036
; %bb.1035:
	v_cvt_f32_f64_e32 v4, v[40:41]
	global_store_dword v[2:3], v4, off
.LBB11_1036:
	s_mov_b32 s7, 0
.LBB11_1037:
	s_andn2_b32 vcc_lo, exec_lo, s7
	s_cbranch_vccnz .LBB11_1039
; %bb.1038:
	v_and_or_b32 v4, 0x1ff, v41, v40
	v_lshrrev_b32_e32 v5, 8, v41
	v_bfe_u32 v6, v41, 20, 11
	v_cmp_ne_u32_e32 vcc_lo, 0, v4
	v_sub_nc_u32_e32 v7, 0x3f1, v6
	v_add_nc_u32_e32 v6, 0xfffffc10, v6
	v_cndmask_b32_e64 v4, 0, 1, vcc_lo
	v_and_or_b32 v4, 0xffe, v5, v4
	v_med3_i32 v5, v7, 0, 13
	v_or_b32_e32 v7, 0x1000, v4
	v_lshrrev_b32_e32 v8, v5, v7
	v_lshlrev_b32_e32 v5, v5, v8
	v_cmp_ne_u32_e32 vcc_lo, v5, v7
	v_lshl_or_b32 v7, v6, 12, v4
	v_cndmask_b32_e64 v5, 0, 1, vcc_lo
	v_cmp_gt_i32_e32 vcc_lo, 1, v6
	v_or_b32_e32 v5, v8, v5
	v_cndmask_b32_e32 v5, v7, v5, vcc_lo
	v_and_b32_e32 v7, 7, v5
	v_lshrrev_b32_e32 v5, 2, v5
	v_cmp_lt_i32_e32 vcc_lo, 5, v7
	v_cndmask_b32_e64 v8, 0, 1, vcc_lo
	v_cmp_eq_u32_e32 vcc_lo, 3, v7
	v_cndmask_b32_e64 v7, 0, 1, vcc_lo
	v_cmp_ne_u32_e32 vcc_lo, 0, v4
	v_or_b32_e32 v7, v7, v8
	v_mov_b32_e32 v8, 0x7e00
	v_add_nc_u32_e32 v5, v5, v7
	v_cndmask_b32_e32 v4, 0x7c00, v8, vcc_lo
	v_cmp_gt_i32_e32 vcc_lo, 31, v6
	v_cndmask_b32_e32 v5, 0x7c00, v5, vcc_lo
	v_cmp_eq_u32_e32 vcc_lo, 0x40f, v6
	v_cndmask_b32_e32 v4, v5, v4, vcc_lo
	v_lshrrev_b32_e32 v5, 16, v41
	v_and_or_b32 v4, 0x8000, v5, v4
	global_store_short v[2:3], v4, off
.LBB11_1039:
	s_mov_b32 s7, 0
.LBB11_1040:
	s_andn2_b32 vcc_lo, exec_lo, s7
	s_cbranch_vccnz .LBB11_1056
; %bb.1041:
	s_cmp_lt_i32 s4, 2
	s_mov_b32 s7, -1
	s_cbranch_scc1 .LBB11_1051
; %bb.1042:
	s_cmp_lt_i32 s4, 3
	s_cbranch_scc1 .LBB11_1048
; %bb.1043:
	s_cmp_gt_i32 s4, 3
	s_cbranch_scc0 .LBB11_1045
; %bb.1044:
	v_trunc_f64_e32 v[4:5], v[40:41]
	s_mov_b32 s7, 0
	v_ldexp_f64 v[6:7], v[4:5], 0xffffffe0
	v_floor_f64_e32 v[6:7], v[6:7]
	v_fma_f64 v[4:5], 0xc1f00000, v[6:7], v[4:5]
	v_cvt_i32_f64_e32 v6, v[6:7]
	v_cvt_u32_f64_e32 v5, v[4:5]
	global_store_dwordx2 v[2:3], v[5:6], off
.LBB11_1045:
	s_andn2_b32 vcc_lo, exec_lo, s7
	s_cbranch_vccnz .LBB11_1047
; %bb.1046:
	v_cvt_i32_f64_e32 v4, v[40:41]
	global_store_dword v[2:3], v4, off
.LBB11_1047:
	s_mov_b32 s7, 0
.LBB11_1048:
	s_andn2_b32 vcc_lo, exec_lo, s7
	s_cbranch_vccnz .LBB11_1050
; %bb.1049:
	v_cvt_i32_f64_e32 v4, v[40:41]
	global_store_short v[2:3], v4, off
.LBB11_1050:
	s_mov_b32 s7, 0
.LBB11_1051:
	s_andn2_b32 vcc_lo, exec_lo, s7
	s_cbranch_vccnz .LBB11_1056
; %bb.1052:
	s_cmp_gt_i32 s4, 0
	s_mov_b32 s4, -1
	s_cbranch_scc0 .LBB11_1054
; %bb.1053:
	v_cvt_i32_f64_e32 v4, v[40:41]
	s_mov_b32 s4, 0
	global_store_byte v[2:3], v4, off
.LBB11_1054:
	s_andn2_b32 vcc_lo, exec_lo, s4
	s_cbranch_vccnz .LBB11_1056
; %bb.1055:
	v_trunc_f64_e32 v[4:5], v[40:41]
	v_ldexp_f64 v[6:7], v[4:5], 0xffffffe0
	v_floor_f64_e32 v[6:7], v[6:7]
	v_fma_f64 v[4:5], 0xc1f00000, v[6:7], v[4:5]
	v_cvt_u32_f64_e32 v4, v[4:5]
	global_store_byte v[2:3], v4, off
.LBB11_1056:
	s_branch .LBB11_942
.LBB11_1057:
	s_mov_b32 s4, 0
	s_mov_b32 s8, 0
                                        ; implicit-def: $sgpr5
                                        ; implicit-def: $vgpr4_vgpr5
.LBB11_1058:
	s_andn2_b32 s7, s34, exec_lo
	s_and_b32 s6, s6, exec_lo
	s_and_b32 s4, s4, exec_lo
	;; [unrolled: 1-line block ×3, first 2 shown]
	s_or_b32 s34, s7, s6
.LBB11_1059:
	s_or_b32 exec_lo, exec_lo, s35
	s_and_saveexec_b32 s6, s34
	s_cbranch_execz .LBB11_1062
; %bb.1060:
	; divergent unreachable
	s_or_b32 exec_lo, exec_lo, s6
	s_and_saveexec_b32 s6, s51
	s_xor_b32 s6, exec_lo, s6
	s_cbranch_execnz .LBB11_1063
.LBB11_1061:
	s_or_b32 exec_lo, exec_lo, s6
	s_and_saveexec_b32 s6, s4
	s_cbranch_execnz .LBB11_1064
	s_branch .LBB11_1101
.LBB11_1062:
	s_or_b32 exec_lo, exec_lo, s6
	s_and_saveexec_b32 s6, s51
	s_xor_b32 s6, exec_lo, s6
	s_cbranch_execz .LBB11_1061
.LBB11_1063:
	v_cmp_neq_f64_e32 vcc_lo, 0, v[0:1]
	v_cndmask_b32_e64 v2, 0, 1, vcc_lo
	global_store_byte v[4:5], v2, off
	s_or_b32 exec_lo, exec_lo, s6
	s_and_saveexec_b32 s6, s4
	s_cbranch_execz .LBB11_1101
.LBB11_1064:
	s_sext_i32_i16 s6, s5
	s_mov_b32 s4, -1
	s_cmp_lt_i32 s6, 5
	s_cbranch_scc1 .LBB11_1085
; %bb.1065:
	s_cmp_lt_i32 s6, 8
	s_cbranch_scc1 .LBB11_1075
; %bb.1066:
	;; [unrolled: 3-line block ×3, first 2 shown]
	s_cmp_gt_i32 s6, 9
	s_cbranch_scc0 .LBB11_1069
; %bb.1068:
	v_mov_b32_e32 v2, 0
	s_mov_b32 s4, 0
	v_mov_b32_e32 v3, v2
	global_store_dwordx4 v[4:5], v[0:3], off
.LBB11_1069:
	s_andn2_b32 vcc_lo, exec_lo, s4
	s_cbranch_vccnz .LBB11_1071
; %bb.1070:
	v_cvt_f32_f64_e32 v2, v[0:1]
	v_mov_b32_e32 v3, 0
	global_store_dwordx2 v[4:5], v[2:3], off
.LBB11_1071:
	s_mov_b32 s4, 0
.LBB11_1072:
	s_andn2_b32 vcc_lo, exec_lo, s4
	s_cbranch_vccnz .LBB11_1074
; %bb.1073:
	v_and_or_b32 v2, 0x1ff, v1, v0
	v_lshrrev_b32_e32 v3, 8, v1
	v_bfe_u32 v6, v1, 20, 11
	v_cmp_ne_u32_e32 vcc_lo, 0, v2
	v_sub_nc_u32_e32 v7, 0x3f1, v6
	v_add_nc_u32_e32 v6, 0xfffffc10, v6
	v_cndmask_b32_e64 v2, 0, 1, vcc_lo
	v_and_or_b32 v2, 0xffe, v3, v2
	v_med3_i32 v3, v7, 0, 13
	v_or_b32_e32 v7, 0x1000, v2
	v_lshrrev_b32_e32 v8, v3, v7
	v_lshlrev_b32_e32 v3, v3, v8
	v_cmp_ne_u32_e32 vcc_lo, v3, v7
	v_lshl_or_b32 v7, v6, 12, v2
	v_cndmask_b32_e64 v3, 0, 1, vcc_lo
	v_cmp_gt_i32_e32 vcc_lo, 1, v6
	v_or_b32_e32 v3, v8, v3
	v_cndmask_b32_e32 v3, v7, v3, vcc_lo
	v_and_b32_e32 v7, 7, v3
	v_lshrrev_b32_e32 v3, 2, v3
	v_cmp_lt_i32_e32 vcc_lo, 5, v7
	v_cndmask_b32_e64 v8, 0, 1, vcc_lo
	v_cmp_eq_u32_e32 vcc_lo, 3, v7
	v_cndmask_b32_e64 v7, 0, 1, vcc_lo
	v_cmp_ne_u32_e32 vcc_lo, 0, v2
	v_or_b32_e32 v7, v7, v8
	v_mov_b32_e32 v8, 0x7e00
	v_add_nc_u32_e32 v3, v3, v7
	v_cndmask_b32_e32 v2, 0x7c00, v8, vcc_lo
	v_cmp_gt_i32_e32 vcc_lo, 31, v6
	v_cndmask_b32_e32 v3, 0x7c00, v3, vcc_lo
	v_cmp_eq_u32_e32 vcc_lo, 0x40f, v6
	v_cndmask_b32_e32 v2, v3, v2, vcc_lo
	v_lshrrev_b32_e32 v3, 16, v1
	v_and_or_b32 v2, 0x8000, v3, v2
	v_and_b32_e32 v2, 0xffff, v2
	global_store_dword v[4:5], v2, off
.LBB11_1074:
	s_mov_b32 s4, 0
.LBB11_1075:
	s_andn2_b32 vcc_lo, exec_lo, s4
	s_cbranch_vccnz .LBB11_1084
; %bb.1076:
	s_sext_i32_i16 s6, s5
	s_mov_b32 s4, -1
	s_cmp_lt_i32 s6, 6
	s_cbranch_scc1 .LBB11_1082
; %bb.1077:
	s_cmp_gt_i32 s6, 6
	s_cbranch_scc0 .LBB11_1079
; %bb.1078:
	s_mov_b32 s4, 0
	global_store_dwordx2 v[4:5], v[0:1], off
.LBB11_1079:
	s_andn2_b32 vcc_lo, exec_lo, s4
	s_cbranch_vccnz .LBB11_1081
; %bb.1080:
	v_cvt_f32_f64_e32 v2, v[0:1]
	global_store_dword v[4:5], v2, off
.LBB11_1081:
	s_mov_b32 s4, 0
.LBB11_1082:
	s_andn2_b32 vcc_lo, exec_lo, s4
	s_cbranch_vccnz .LBB11_1084
; %bb.1083:
	v_and_or_b32 v2, 0x1ff, v1, v0
	v_lshrrev_b32_e32 v3, 8, v1
	v_bfe_u32 v6, v1, 20, 11
	v_cmp_ne_u32_e32 vcc_lo, 0, v2
	v_sub_nc_u32_e32 v7, 0x3f1, v6
	v_add_nc_u32_e32 v6, 0xfffffc10, v6
	v_cndmask_b32_e64 v2, 0, 1, vcc_lo
	v_and_or_b32 v2, 0xffe, v3, v2
	v_med3_i32 v3, v7, 0, 13
	v_or_b32_e32 v7, 0x1000, v2
	v_lshrrev_b32_e32 v8, v3, v7
	v_lshlrev_b32_e32 v3, v3, v8
	v_cmp_ne_u32_e32 vcc_lo, v3, v7
	v_lshl_or_b32 v7, v6, 12, v2
	v_cndmask_b32_e64 v3, 0, 1, vcc_lo
	v_cmp_gt_i32_e32 vcc_lo, 1, v6
	v_or_b32_e32 v3, v8, v3
	v_cndmask_b32_e32 v3, v7, v3, vcc_lo
	v_and_b32_e32 v7, 7, v3
	v_lshrrev_b32_e32 v3, 2, v3
	v_cmp_lt_i32_e32 vcc_lo, 5, v7
	v_cndmask_b32_e64 v8, 0, 1, vcc_lo
	v_cmp_eq_u32_e32 vcc_lo, 3, v7
	v_cndmask_b32_e64 v7, 0, 1, vcc_lo
	v_cmp_ne_u32_e32 vcc_lo, 0, v2
	v_or_b32_e32 v7, v7, v8
	v_mov_b32_e32 v8, 0x7e00
	v_add_nc_u32_e32 v3, v3, v7
	v_cndmask_b32_e32 v2, 0x7c00, v8, vcc_lo
	v_cmp_gt_i32_e32 vcc_lo, 31, v6
	v_cndmask_b32_e32 v3, 0x7c00, v3, vcc_lo
	v_cmp_eq_u32_e32 vcc_lo, 0x40f, v6
	v_cndmask_b32_e32 v2, v3, v2, vcc_lo
	v_lshrrev_b32_e32 v3, 16, v1
	v_and_or_b32 v2, 0x8000, v3, v2
	global_store_short v[4:5], v2, off
.LBB11_1084:
	s_mov_b32 s4, 0
.LBB11_1085:
	s_andn2_b32 vcc_lo, exec_lo, s4
	s_cbranch_vccnz .LBB11_1101
; %bb.1086:
	s_sext_i32_i16 s6, s5
	s_mov_b32 s4, -1
	s_cmp_lt_i32 s6, 2
	s_cbranch_scc1 .LBB11_1096
; %bb.1087:
	s_cmp_lt_i32 s6, 3
	s_cbranch_scc1 .LBB11_1093
; %bb.1088:
	s_cmp_gt_i32 s6, 3
	s_cbranch_scc0 .LBB11_1090
; %bb.1089:
	v_trunc_f64_e32 v[2:3], v[0:1]
	s_mov_b32 s4, 0
	v_ldexp_f64 v[6:7], v[2:3], 0xffffffe0
	v_floor_f64_e32 v[6:7], v[6:7]
	v_fma_f64 v[2:3], 0xc1f00000, v[6:7], v[2:3]
	v_cvt_i32_f64_e32 v7, v[6:7]
	v_cvt_u32_f64_e32 v6, v[2:3]
	global_store_dwordx2 v[4:5], v[6:7], off
.LBB11_1090:
	s_andn2_b32 vcc_lo, exec_lo, s4
	s_cbranch_vccnz .LBB11_1092
; %bb.1091:
	v_cvt_i32_f64_e32 v2, v[0:1]
	global_store_dword v[4:5], v2, off
.LBB11_1092:
	s_mov_b32 s4, 0
.LBB11_1093:
	s_andn2_b32 vcc_lo, exec_lo, s4
	s_cbranch_vccnz .LBB11_1095
; %bb.1094:
	v_cvt_i32_f64_e32 v2, v[0:1]
	global_store_short v[4:5], v2, off
.LBB11_1095:
	s_mov_b32 s4, 0
.LBB11_1096:
	s_andn2_b32 vcc_lo, exec_lo, s4
	s_cbranch_vccnz .LBB11_1101
; %bb.1097:
	s_sext_i32_i16 s4, s5
	s_cmp_gt_i32 s4, 0
	s_mov_b32 s4, -1
	s_cbranch_scc0 .LBB11_1099
; %bb.1098:
	v_cvt_i32_f64_e32 v2, v[0:1]
	s_mov_b32 s4, 0
	global_store_byte v[4:5], v2, off
.LBB11_1099:
	s_andn2_b32 vcc_lo, exec_lo, s4
	s_cbranch_vccnz .LBB11_1101
; %bb.1100:
	v_trunc_f64_e32 v[0:1], v[0:1]
	v_ldexp_f64 v[2:3], v[0:1], 0xffffffe0
	v_floor_f64_e32 v[2:3], v[2:3]
	v_fma_f64 v[0:1], 0xc1f00000, v[2:3], v[0:1]
	v_cvt_u32_f64_e32 v0, v[0:1]
	global_store_byte v[4:5], v0, off
	s_endpgm
.LBB11_1101:
	s_endpgm
.LBB11_1102:
	s_mov_b32 s8, 0
	s_mov_b32 s4, -1
	s_branch .LBB11_1058
.LBB11_1103:
	s_andn2_saveexec_b32 s10, s10
	s_cbranch_execz .LBB11_655
.LBB11_1104:
	v_add_f32_e64 v5, 0x46000000, |v4|
	s_andn2_b32 s9, s9, exec_lo
	v_and_b32_e32 v5, 0xff, v5
	v_cmp_ne_u32_e32 vcc_lo, 0, v5
	s_and_b32 s11, vcc_lo, exec_lo
	s_or_b32 s9, s9, s11
	s_or_b32 exec_lo, exec_lo, s10
	v_mov_b32_e32 v6, 0
	s_and_saveexec_b32 s10, s9
	s_cbranch_execnz .LBB11_656
	s_branch .LBB11_657
.LBB11_1105:
	s_or_b32 s6, s34, exec_lo
	s_trap 2
	s_cbranch_execz .LBB11_703
	s_branch .LBB11_704
.LBB11_1106:
	s_andn2_saveexec_b32 s9, s9
	s_cbranch_execz .LBB11_668
.LBB11_1107:
	v_add_f32_e64 v5, 0x42800000, |v4|
	s_andn2_b32 s8, s8, exec_lo
	v_and_b32_e32 v5, 0xff, v5
	v_cmp_ne_u32_e32 vcc_lo, 0, v5
	s_and_b32 s10, vcc_lo, exec_lo
	s_or_b32 s8, s8, s10
	s_or_b32 exec_lo, exec_lo, s9
	v_mov_b32_e32 v6, 0
	s_and_saveexec_b32 s9, s8
	s_cbranch_execnz .LBB11_669
	s_branch .LBB11_670
.LBB11_1108:
	s_andn2_saveexec_b32 s11, s11
	s_cbranch_execz .LBB11_773
.LBB11_1109:
	v_add_f32_e64 v5, 0x46000000, |v4|
	s_andn2_b32 s10, s10, exec_lo
	v_and_b32_e32 v5, 0xff, v5
	v_cmp_ne_u32_e32 vcc_lo, 0, v5
	s_and_b32 s12, vcc_lo, exec_lo
	s_or_b32 s10, s10, s12
	s_or_b32 exec_lo, exec_lo, s11
	v_mov_b32_e32 v6, 0
	s_and_saveexec_b32 s11, s10
	s_cbranch_execnz .LBB11_774
	s_branch .LBB11_775
.LBB11_1110:
	s_or_b32 s6, s6, exec_lo
	s_trap 2
	s_cbranch_execz .LBB11_821
	s_branch .LBB11_822
.LBB11_1111:
	s_andn2_saveexec_b32 s10, s10
	s_cbranch_execz .LBB11_786
.LBB11_1112:
	v_add_f32_e64 v5, 0x42800000, |v4|
	s_andn2_b32 s9, s9, exec_lo
	v_and_b32_e32 v5, 0xff, v5
	v_cmp_ne_u32_e32 vcc_lo, 0, v5
	s_and_b32 s11, vcc_lo, exec_lo
	s_or_b32 s9, s9, s11
	s_or_b32 exec_lo, exec_lo, s10
	v_mov_b32_e32 v6, 0
	s_and_saveexec_b32 s10, s9
	s_cbranch_execnz .LBB11_787
	s_branch .LBB11_788
.LBB11_1113:
	s_andn2_saveexec_b32 s11, s11
	s_cbranch_execz .LBB11_891
.LBB11_1114:
	v_add_f32_e64 v5, 0x46000000, |v4|
	s_andn2_b32 s10, s10, exec_lo
	v_and_b32_e32 v5, 0xff, v5
	v_cmp_ne_u32_e32 vcc_lo, 0, v5
	s_and_b32 s12, vcc_lo, exec_lo
	s_or_b32 s10, s10, s12
	s_or_b32 exec_lo, exec_lo, s11
	v_mov_b32_e32 v6, 0
	s_and_saveexec_b32 s11, s10
	s_cbranch_execnz .LBB11_892
	s_branch .LBB11_893
.LBB11_1115:
	s_or_b32 s6, s6, exec_lo
	s_trap 2
	s_cbranch_execz .LBB11_939
	s_branch .LBB11_940
.LBB11_1116:
	s_andn2_saveexec_b32 s10, s10
	s_cbranch_execz .LBB11_904
.LBB11_1117:
	v_add_f32_e64 v5, 0x42800000, |v4|
	s_andn2_b32 s9, s9, exec_lo
	v_and_b32_e32 v5, 0xff, v5
	v_cmp_ne_u32_e32 vcc_lo, 0, v5
	s_and_b32 s11, vcc_lo, exec_lo
	s_or_b32 s9, s9, s11
	s_or_b32 exec_lo, exec_lo, s10
	v_mov_b32_e32 v6, 0
	s_and_saveexec_b32 s10, s9
	s_cbranch_execnz .LBB11_905
	s_branch .LBB11_906
.LBB11_1118:
	s_andn2_saveexec_b32 s11, s11
	s_cbranch_execz .LBB11_971
.LBB11_1119:
	v_add_f32_e64 v3, 0x46000000, |v2|
	s_andn2_b32 s10, s10, exec_lo
	v_and_b32_e32 v3, 0xff, v3
	v_cmp_ne_u32_e32 vcc_lo, 0, v3
	s_and_b32 s12, vcc_lo, exec_lo
	s_or_b32 s10, s10, s12
	s_or_b32 exec_lo, exec_lo, s11
	v_mov_b32_e32 v6, 0
	s_and_saveexec_b32 s11, s10
	s_cbranch_execnz .LBB11_972
	s_branch .LBB11_973
.LBB11_1120:
	s_mov_b32 s8, 0
	s_or_b32 s6, s6, exec_lo
	s_trap 2
	s_branch .LBB11_1017
.LBB11_1121:
	s_andn2_saveexec_b32 s9, s9
	s_cbranch_execz .LBB11_480
.LBB11_1122:
	v_add_f32_e64 v3, 0x46000000, |v2|
	s_andn2_b32 s8, s8, exec_lo
	v_and_b32_e32 v3, 0xff, v3
	v_cmp_ne_u32_e32 vcc_lo, 0, v3
	s_and_b32 s10, vcc_lo, exec_lo
	s_or_b32 s8, s8, s10
	s_or_b32 exec_lo, exec_lo, s9
	v_mov_b32_e32 v6, 0
	s_and_saveexec_b32 s9, s8
	s_cbranch_execnz .LBB11_481
	s_branch .LBB11_482
.LBB11_1123:
	s_andn2_saveexec_b32 s10, s10
	s_cbranch_execz .LBB11_983
.LBB11_1124:
	v_add_f32_e64 v3, 0x42800000, |v2|
	s_andn2_b32 s9, s9, exec_lo
	v_and_b32_e32 v3, 0xff, v3
	v_cmp_ne_u32_e32 vcc_lo, 0, v3
	s_and_b32 s11, vcc_lo, exec_lo
	s_or_b32 s9, s9, s11
	s_or_b32 exec_lo, exec_lo, s10
	v_mov_b32_e32 v6, 0
	s_and_saveexec_b32 s10, s9
	s_cbranch_execnz .LBB11_984
	s_branch .LBB11_985
.LBB11_1125:
	s_andn2_saveexec_b32 s10, s10
	s_cbranch_execz .LBB11_492
.LBB11_1126:
	v_add_f32_e64 v3, 0x42800000, |v2|
	s_andn2_b32 s9, s9, exec_lo
	v_and_b32_e32 v3, 0xff, v3
	v_cmp_ne_u32_e32 vcc_lo, 0, v3
	s_and_b32 s11, vcc_lo, exec_lo
	s_or_b32 s9, s9, s11
	s_or_b32 exec_lo, exec_lo, s10
	v_mov_b32_e32 v6, 0
	s_and_saveexec_b32 s10, s9
	s_cbranch_execnz .LBB11_493
	s_branch .LBB11_494
	.section	.rodata,"a",@progbits
	.p2align	6, 0x0
	.amdhsa_kernel _ZN2at6native32elementwise_kernel_manual_unrollILi128ELi4EZNS0_15gpu_kernel_implIZZZNS0_12_GLOBAL__N_121bessel_y1_kernel_cudaERNS_18TensorIteratorBaseEENKUlvE_clEvENKUlvE_clEvEUldE_EEvS5_RKT_EUlibE0_EEviT1_
		.amdhsa_group_segment_fixed_size 0
		.amdhsa_private_segment_fixed_size 0
		.amdhsa_kernarg_size 360
		.amdhsa_user_sgpr_count 6
		.amdhsa_user_sgpr_private_segment_buffer 1
		.amdhsa_user_sgpr_dispatch_ptr 0
		.amdhsa_user_sgpr_queue_ptr 0
		.amdhsa_user_sgpr_kernarg_segment_ptr 1
		.amdhsa_user_sgpr_dispatch_id 0
		.amdhsa_user_sgpr_flat_scratch_init 0
		.amdhsa_user_sgpr_private_segment_size 0
		.amdhsa_wavefront_size32 1
		.amdhsa_uses_dynamic_stack 0
		.amdhsa_system_sgpr_private_segment_wavefront_offset 0
		.amdhsa_system_sgpr_workgroup_id_x 1
		.amdhsa_system_sgpr_workgroup_id_y 0
		.amdhsa_system_sgpr_workgroup_id_z 0
		.amdhsa_system_sgpr_workgroup_info 0
		.amdhsa_system_vgpr_workitem_id 0
		.amdhsa_next_free_vgpr 84
		.amdhsa_next_free_sgpr 72
		.amdhsa_reserve_vcc 1
		.amdhsa_reserve_flat_scratch 0
		.amdhsa_float_round_mode_32 0
		.amdhsa_float_round_mode_16_64 0
		.amdhsa_float_denorm_mode_32 3
		.amdhsa_float_denorm_mode_16_64 3
		.amdhsa_dx10_clamp 1
		.amdhsa_ieee_mode 1
		.amdhsa_fp16_overflow 0
		.amdhsa_workgroup_processor_mode 1
		.amdhsa_memory_ordered 1
		.amdhsa_forward_progress 1
		.amdhsa_shared_vgpr_count 0
		.amdhsa_exception_fp_ieee_invalid_op 0
		.amdhsa_exception_fp_denorm_src 0
		.amdhsa_exception_fp_ieee_div_zero 0
		.amdhsa_exception_fp_ieee_overflow 0
		.amdhsa_exception_fp_ieee_underflow 0
		.amdhsa_exception_fp_ieee_inexact 0
		.amdhsa_exception_int_div_zero 0
	.end_amdhsa_kernel
	.section	.text._ZN2at6native32elementwise_kernel_manual_unrollILi128ELi4EZNS0_15gpu_kernel_implIZZZNS0_12_GLOBAL__N_121bessel_y1_kernel_cudaERNS_18TensorIteratorBaseEENKUlvE_clEvENKUlvE_clEvEUldE_EEvS5_RKT_EUlibE0_EEviT1_,"axG",@progbits,_ZN2at6native32elementwise_kernel_manual_unrollILi128ELi4EZNS0_15gpu_kernel_implIZZZNS0_12_GLOBAL__N_121bessel_y1_kernel_cudaERNS_18TensorIteratorBaseEENKUlvE_clEvENKUlvE_clEvEUldE_EEvS5_RKT_EUlibE0_EEviT1_,comdat
.Lfunc_end11:
	.size	_ZN2at6native32elementwise_kernel_manual_unrollILi128ELi4EZNS0_15gpu_kernel_implIZZZNS0_12_GLOBAL__N_121bessel_y1_kernel_cudaERNS_18TensorIteratorBaseEENKUlvE_clEvENKUlvE_clEvEUldE_EEvS5_RKT_EUlibE0_EEviT1_, .Lfunc_end11-_ZN2at6native32elementwise_kernel_manual_unrollILi128ELi4EZNS0_15gpu_kernel_implIZZZNS0_12_GLOBAL__N_121bessel_y1_kernel_cudaERNS_18TensorIteratorBaseEENKUlvE_clEvENKUlvE_clEvEUldE_EEvS5_RKT_EUlibE0_EEviT1_
                                        ; -- End function
	.set _ZN2at6native32elementwise_kernel_manual_unrollILi128ELi4EZNS0_15gpu_kernel_implIZZZNS0_12_GLOBAL__N_121bessel_y1_kernel_cudaERNS_18TensorIteratorBaseEENKUlvE_clEvENKUlvE_clEvEUldE_EEvS5_RKT_EUlibE0_EEviT1_.num_vgpr, max(64, .L_ZN2at6native6invokeIZZZNS0_12_GLOBAL__N_121bessel_y1_kernel_cudaERNS_18TensorIteratorBaseEENKUlvE_clEvENKUlvE_clEvEUldE_j15function_traitsIS7_EEENT1_11result_typeERKT_PrKPcPKT0_PKN3c1010ScalarTypeEi.num_vgpr)
	.set _ZN2at6native32elementwise_kernel_manual_unrollILi128ELi4EZNS0_15gpu_kernel_implIZZZNS0_12_GLOBAL__N_121bessel_y1_kernel_cudaERNS_18TensorIteratorBaseEENKUlvE_clEvENKUlvE_clEvEUldE_EEvS5_RKT_EUlibE0_EEviT1_.num_agpr, max(0, .L_ZN2at6native6invokeIZZZNS0_12_GLOBAL__N_121bessel_y1_kernel_cudaERNS_18TensorIteratorBaseEENKUlvE_clEvENKUlvE_clEvEUldE_j15function_traitsIS7_EEENT1_11result_typeERKT_PrKPcPKT0_PKN3c1010ScalarTypeEi.num_agpr)
	.set _ZN2at6native32elementwise_kernel_manual_unrollILi128ELi4EZNS0_15gpu_kernel_implIZZZNS0_12_GLOBAL__N_121bessel_y1_kernel_cudaERNS_18TensorIteratorBaseEENKUlvE_clEvENKUlvE_clEvEUldE_EEvS5_RKT_EUlibE0_EEviT1_.numbered_sgpr, max(72, .L_ZN2at6native6invokeIZZZNS0_12_GLOBAL__N_121bessel_y1_kernel_cudaERNS_18TensorIteratorBaseEENKUlvE_clEvENKUlvE_clEvEUldE_j15function_traitsIS7_EEENT1_11result_typeERKT_PrKPcPKT0_PKN3c1010ScalarTypeEi.numbered_sgpr)
	.set _ZN2at6native32elementwise_kernel_manual_unrollILi128ELi4EZNS0_15gpu_kernel_implIZZZNS0_12_GLOBAL__N_121bessel_y1_kernel_cudaERNS_18TensorIteratorBaseEENKUlvE_clEvENKUlvE_clEvEUldE_EEvS5_RKT_EUlibE0_EEviT1_.num_named_barrier, max(0, .L_ZN2at6native6invokeIZZZNS0_12_GLOBAL__N_121bessel_y1_kernel_cudaERNS_18TensorIteratorBaseEENKUlvE_clEvENKUlvE_clEvEUldE_j15function_traitsIS7_EEENT1_11result_typeERKT_PrKPcPKT0_PKN3c1010ScalarTypeEi.num_named_barrier)
	.set _ZN2at6native32elementwise_kernel_manual_unrollILi128ELi4EZNS0_15gpu_kernel_implIZZZNS0_12_GLOBAL__N_121bessel_y1_kernel_cudaERNS_18TensorIteratorBaseEENKUlvE_clEvENKUlvE_clEvEUldE_EEvS5_RKT_EUlibE0_EEviT1_.private_seg_size, 0+max(.L_ZN2at6native6invokeIZZZNS0_12_GLOBAL__N_121bessel_y1_kernel_cudaERNS_18TensorIteratorBaseEENKUlvE_clEvENKUlvE_clEvEUldE_j15function_traitsIS7_EEENT1_11result_typeERKT_PrKPcPKT0_PKN3c1010ScalarTypeEi.private_seg_size)
	.set _ZN2at6native32elementwise_kernel_manual_unrollILi128ELi4EZNS0_15gpu_kernel_implIZZZNS0_12_GLOBAL__N_121bessel_y1_kernel_cudaERNS_18TensorIteratorBaseEENKUlvE_clEvENKUlvE_clEvEUldE_EEvS5_RKT_EUlibE0_EEviT1_.uses_vcc, or(1, .L_ZN2at6native6invokeIZZZNS0_12_GLOBAL__N_121bessel_y1_kernel_cudaERNS_18TensorIteratorBaseEENKUlvE_clEvENKUlvE_clEvEUldE_j15function_traitsIS7_EEENT1_11result_typeERKT_PrKPcPKT0_PKN3c1010ScalarTypeEi.uses_vcc)
	.set _ZN2at6native32elementwise_kernel_manual_unrollILi128ELi4EZNS0_15gpu_kernel_implIZZZNS0_12_GLOBAL__N_121bessel_y1_kernel_cudaERNS_18TensorIteratorBaseEENKUlvE_clEvENKUlvE_clEvEUldE_EEvS5_RKT_EUlibE0_EEviT1_.uses_flat_scratch, or(0, .L_ZN2at6native6invokeIZZZNS0_12_GLOBAL__N_121bessel_y1_kernel_cudaERNS_18TensorIteratorBaseEENKUlvE_clEvENKUlvE_clEvEUldE_j15function_traitsIS7_EEENT1_11result_typeERKT_PrKPcPKT0_PKN3c1010ScalarTypeEi.uses_flat_scratch)
	.set _ZN2at6native32elementwise_kernel_manual_unrollILi128ELi4EZNS0_15gpu_kernel_implIZZZNS0_12_GLOBAL__N_121bessel_y1_kernel_cudaERNS_18TensorIteratorBaseEENKUlvE_clEvENKUlvE_clEvEUldE_EEvS5_RKT_EUlibE0_EEviT1_.has_dyn_sized_stack, or(0, .L_ZN2at6native6invokeIZZZNS0_12_GLOBAL__N_121bessel_y1_kernel_cudaERNS_18TensorIteratorBaseEENKUlvE_clEvENKUlvE_clEvEUldE_j15function_traitsIS7_EEENT1_11result_typeERKT_PrKPcPKT0_PKN3c1010ScalarTypeEi.has_dyn_sized_stack)
	.set _ZN2at6native32elementwise_kernel_manual_unrollILi128ELi4EZNS0_15gpu_kernel_implIZZZNS0_12_GLOBAL__N_121bessel_y1_kernel_cudaERNS_18TensorIteratorBaseEENKUlvE_clEvENKUlvE_clEvEUldE_EEvS5_RKT_EUlibE0_EEviT1_.has_recursion, or(0, .L_ZN2at6native6invokeIZZZNS0_12_GLOBAL__N_121bessel_y1_kernel_cudaERNS_18TensorIteratorBaseEENKUlvE_clEvENKUlvE_clEvEUldE_j15function_traitsIS7_EEENT1_11result_typeERKT_PrKPcPKT0_PKN3c1010ScalarTypeEi.has_recursion)
	.set _ZN2at6native32elementwise_kernel_manual_unrollILi128ELi4EZNS0_15gpu_kernel_implIZZZNS0_12_GLOBAL__N_121bessel_y1_kernel_cudaERNS_18TensorIteratorBaseEENKUlvE_clEvENKUlvE_clEvEUldE_EEvS5_RKT_EUlibE0_EEviT1_.has_indirect_call, or(0, .L_ZN2at6native6invokeIZZZNS0_12_GLOBAL__N_121bessel_y1_kernel_cudaERNS_18TensorIteratorBaseEENKUlvE_clEvENKUlvE_clEvEUldE_j15function_traitsIS7_EEENT1_11result_typeERKT_PrKPcPKT0_PKN3c1010ScalarTypeEi.has_indirect_call)
	.section	.AMDGPU.csdata,"",@progbits
; Kernel info:
; codeLenInByte = 25384
; TotalNumSgprs: 74
; NumVgprs: 84
; ScratchSize: 0
; MemoryBound: 0
; FloatMode: 240
; IeeeMode: 1
; LDSByteSize: 0 bytes/workgroup (compile time only)
; SGPRBlocks: 0
; VGPRBlocks: 10
; NumSGPRsForWavesPerEU: 74
; NumVGPRsForWavesPerEU: 84
; Occupancy: 10
; WaveLimiterHint : 1
; COMPUTE_PGM_RSRC2:SCRATCH_EN: 0
; COMPUTE_PGM_RSRC2:USER_SGPR: 6
; COMPUTE_PGM_RSRC2:TRAP_HANDLER: 0
; COMPUTE_PGM_RSRC2:TGID_X_EN: 1
; COMPUTE_PGM_RSRC2:TGID_Y_EN: 0
; COMPUTE_PGM_RSRC2:TGID_Z_EN: 0
; COMPUTE_PGM_RSRC2:TIDIG_COMP_CNT: 0
	.text
	.p2align	2                               ; -- Begin function _ZN2at6native25elementwise_kernel_helperILb0EZZZNS0_12_GLOBAL__N_121bessel_y1_kernel_cudaERNS_18TensorIteratorBaseEENKUlvE_clEvENKUlvE0_clEvEUlfE_NS0_6memory8policies11unroll_baseILi256ESt5arrayIPcLm2EE23TrivialOffsetCalculatorILi1EjESF_NS8_15LoadWithoutCastENS8_16StoreWithoutCastELi4ELi1EEEEEvT0_T1_
	.type	_ZN2at6native25elementwise_kernel_helperILb0EZZZNS0_12_GLOBAL__N_121bessel_y1_kernel_cudaERNS_18TensorIteratorBaseEENKUlvE_clEvENKUlvE0_clEvEUlfE_NS0_6memory8policies11unroll_baseILi256ESt5arrayIPcLm2EE23TrivialOffsetCalculatorILi1EjESF_NS8_15LoadWithoutCastENS8_16StoreWithoutCastELi4ELi1EEEEEvT0_T1_,@function
_ZN2at6native25elementwise_kernel_helperILb0EZZZNS0_12_GLOBAL__N_121bessel_y1_kernel_cudaERNS_18TensorIteratorBaseEENKUlvE_clEvENKUlvE0_clEvEUlfE_NS0_6memory8policies11unroll_baseILi256ESt5arrayIPcLm2EE23TrivialOffsetCalculatorILi1EjESF_NS8_15LoadWithoutCastENS8_16StoreWithoutCastELi4ELi1EEEEEvT0_T1_: ; @_ZN2at6native25elementwise_kernel_helperILb0EZZZNS0_12_GLOBAL__N_121bessel_y1_kernel_cudaERNS_18TensorIteratorBaseEENKUlvE_clEvENKUlvE0_clEvEUlfE_NS0_6memory8policies11unroll_baseILi256ESt5arrayIPcLm2EE23TrivialOffsetCalculatorILi1EjESF_NS8_15LoadWithoutCastENS8_16StoreWithoutCastELi4ELi1EEEEEvT0_T1_
; %bb.0:
	s_waitcnt vmcnt(0) expcnt(0) lgkmcnt(0)
	v_and_b32_e32 v7, 0x3ff, v31
	s_lshl_b32 s8, s12, 10
	v_mov_b32_e32 v12, 0
	v_mov_b32_e32 v13, 0
	v_cmp_lt_i32_e64 s4, v7, v4
	v_or_b32_e32 v5, s8, v7
	v_add_nc_u32_e32 v8, 0x100, v7
	v_mov_b32_e32 v10, v7
	s_and_saveexec_b32 s5, s4
	s_cbranch_execz .LBB12_2
; %bb.1:
	v_mov_b32_e32 v6, 0
	v_lshlrev_b64 v[9:10], 2, v[5:6]
	v_add_co_u32 v9, vcc_lo, v2, v9
	v_add_co_ci_u32_e64 v10, null, v3, v10, vcc_lo
	flat_load_dword v13, v[9:10]
	v_add_nc_u32_e32 v10, 0x100, v7
.LBB12_2:
	s_or_b32 exec_lo, exec_lo, s5
	s_mov_b32 s5, exec_lo
	v_cmpx_lt_i32_e64 v10, v4
	s_cbranch_execz .LBB12_4
; %bb.3:
	v_add_nc_u32_e32 v11, s8, v10
	v_mov_b32_e32 v12, 0
	v_add_nc_u32_e32 v10, 0x100, v10
	v_lshlrev_b64 v[11:12], 2, v[11:12]
	v_add_co_u32 v11, vcc_lo, v2, v11
	v_add_co_ci_u32_e64 v12, null, v3, v12, vcc_lo
	flat_load_dword v12, v[11:12]
.LBB12_4:
	s_or_b32 exec_lo, exec_lo, s5
	v_mov_b32_e32 v6, 0
	v_mov_b32_e32 v9, 0
	s_mov_b32 s5, exec_lo
	v_cmpx_lt_i32_e64 v10, v4
	s_cbranch_execz .LBB12_6
; %bb.5:
	v_add_nc_u32_e32 v14, s8, v10
	v_mov_b32_e32 v15, 0
	v_add_nc_u32_e32 v10, 0x100, v10
	v_lshlrev_b64 v[14:15], 2, v[14:15]
	v_add_co_u32 v14, vcc_lo, v2, v14
	v_add_co_ci_u32_e64 v15, null, v3, v15, vcc_lo
	flat_load_dword v9, v[14:15]
.LBB12_6:
	s_or_b32 exec_lo, exec_lo, s5
	s_mov_b32 s5, exec_lo
	v_cmpx_lt_i32_e64 v10, v4
	s_cbranch_execz .LBB12_8
; %bb.7:
	v_add_nc_u32_e32 v10, s8, v10
	v_mov_b32_e32 v11, 0
	v_lshlrev_b64 v[10:11], 2, v[10:11]
	v_add_co_u32 v2, vcc_lo, v2, v10
	v_add_co_ci_u32_e64 v3, null, v3, v11, vcc_lo
	flat_load_dword v6, v[2:3]
.LBB12_8:
	s_or_b32 exec_lo, exec_lo, s5
	v_mov_b32_e32 v2, 0
	v_mov_b32_e32 v11, v2
	;; [unrolled: 1-line block ×4, first 2 shown]
	s_and_saveexec_b32 s9, s4
	s_cbranch_execz .LBB12_26
; %bb.9:
                                        ; implicit-def: $vgpr2
	s_mov_b32 s5, exec_lo
	s_waitcnt vmcnt(0) lgkmcnt(0)
	v_cmpx_ge_f32_e32 0x40a00000, v13
	s_xor_b32 s10, exec_lo, s5
	s_cbranch_execz .LBB12_15
; %bb.10:
	v_mov_b32_e32 v2, 0xff800000
	s_mov_b32 s11, exec_lo
	v_cmpx_neq_f32_e32 0, v13
	s_cbranch_execz .LBB12_14
; %bb.11:
	v_mov_b32_e32 v2, 0x7fc00000
	s_mov_b32 s12, exec_lo
	v_cmpx_nge_f32_e32 0, v13
	s_cbranch_execz .LBB12_13
; %bb.12:
	v_mul_f32_e32 v2, v13, v13
	v_cmp_gt_f32_e64 s5, 0x800000, v13
	v_div_scale_f32 v19, null, v13, v13, -1.0
	v_div_scale_f32 v28, s7, -1.0, v13, -1.0
	v_fmaak_f32 v3, 0, v2, 0x4414934d
	v_fmaak_f32 v10, 0, v2, 0x441b3589
	;; [unrolled: 1-line block ×4, first 2 shown]
	v_cndmask_b32_e64 v18, 0, 32, s5
	v_fmaak_f32 v3, v2, v3, 0x48660b06
	v_fmaak_f32 v10, v2, v10, 0x487af6d0
	;; [unrolled: 1-line block ×4, first 2 shown]
	v_rcp_f32_e32 v20, v19
	v_fmaak_f32 v3, v2, v3, 0x4c8c277d
	v_fmaak_f32 v10, v2, v10, 0x4c9f4aa7
	;; [unrolled: 1-line block ×4, first 2 shown]
	v_ldexp_f32 v18, v13, v18
	v_fmaak_f32 v3, v2, v3, 0x508bc61d
	v_fmaak_f32 v10, v2, v10, 0x50a509fc
	;; [unrolled: 1-line block ×4, first 2 shown]
	v_log_f32_e32 v18, v18
	v_fmaak_f32 v3, v2, v3, 0x5461faf8
	v_fmaak_f32 v10, v2, v10, 0x548a37dc
	;; [unrolled: 1-line block ×3, first 2 shown]
	v_fma_f32 v25, -v19, v20, 1.0
	v_fmaak_f32 v3, v2, v3, 0x580d1937
	v_fmaak_f32 v10, v2, v10, 0x58325852
	;; [unrolled: 1-line block ×3, first 2 shown]
	v_fmac_f32_e32 v20, v25, v20
	v_mul_f32_e32 v29, 0x3f317217, v18
	v_fmaak_f32 v3, v2, v3, 0x5b741f1e
	v_fmaak_f32 v10, v2, v10, 0x5b9f0600
	v_fma_f32 v25, 0x3f317217, v18, -v29
	v_fmaak_f32 v3, v2, v3, 0x5e5c878d
	v_fmaak_f32 v2, v2, v10, 0x5e93bcac
	v_div_scale_f32 v10, null, v3, v3, v11
	v_div_scale_f32 v15, null, v2, v2, v14
	v_div_scale_f32 v23, vcc_lo, v11, v3, v11
	v_rcp_f32_e32 v16, v10
	v_rcp_f32_e32 v17, v15
	v_div_scale_f32 v24, s6, v14, v2, v14
	v_fma_f32 v21, -v10, v16, 1.0
	v_fma_f32 v22, -v15, v17, 1.0
	v_fmac_f32_e32 v16, v21, v16
	v_fmac_f32_e32 v17, v22, v17
	v_mul_f32_e32 v21, v23, v16
	v_mul_f32_e32 v22, v24, v17
	v_fma_f32 v26, -v10, v21, v23
	v_fma_f32 v27, -v15, v22, v24
	v_fmac_f32_e32 v21, v26, v16
	v_fmac_f32_e32 v22, v27, v17
	v_fma_f32 v10, -v10, v21, v23
	v_mul_f32_e32 v23, v28, v20
	v_fma_f32 v15, -v15, v22, v24
	v_div_fmas_f32 v10, v10, v16, v21
	s_mov_b32 vcc_lo, s6
	v_fma_f32 v16, -v19, v23, v28
	v_div_fmas_f32 v15, v15, v17, v22
	v_fmamk_f32 v17, v18, 0x3377d1cf, v25
	v_cmp_gt_f32_e64 vcc_lo, 0x7f800000, |v18|
	v_div_fixup_f32 v3, v10, v3, v11
	v_fmac_f32_e32 v23, v16, v20
	v_div_fixup_f32 v2, v15, v2, v14
	v_fmac_f32_e32 v17, 0x3f317217, v18
	v_fmaak_f32 v14, v13, v13, 0xc16ae95a
	v_fmaak_f32 v15, v13, v13, 0xc244dfb3
	v_fma_f32 v19, -v19, v23, v28
	v_mul_f32_e32 v2, v13, v2
	v_cndmask_b32_e32 v17, v18, v17, vcc_lo
	s_mov_b32 vcc_lo, s7
	v_cndmask_b32_e64 v16, 0, 0x41b17218, s5
	v_mul_f32_e32 v2, v14, v2
	v_div_fmas_f32 v14, v19, v20, v23
	v_sub_f32_e32 v16, v17, v16
	v_mul_f32_e32 v2, v15, v2
	v_div_fixup_f32 v14, v14, v13, -1.0
	v_fmac_f32_e32 v14, v16, v2
	v_mul_f32_e32 v2, 0x3f22f983, v14
	v_fmac_f32_e32 v2, v13, v3
.LBB12_13:
	s_or_b32 exec_lo, exec_lo, s12
.LBB12_14:
	s_or_b32 exec_lo, exec_lo, s11
                                        ; implicit-def: $vgpr13
.LBB12_15:
	s_andn2_saveexec_b32 s10, s10
	s_cbranch_execz .LBB12_25
; %bb.16:
	v_add_f32_e32 v2, 0xc016cbe4, v13
                                        ; implicit-def: $vgpr11
                                        ; implicit-def: $vgpr10
	v_and_b32_e32 v3, 0x7fffffff, v2
	v_cmp_ngt_f32_e64 s7, 0x48000000, |v2|
	v_lshrrev_b32_e32 v15, 23, v3
	s_and_saveexec_b32 s5, s7
	s_xor_b32 s11, exec_lo, s5
	s_cbranch_execz .LBB12_18
; %bb.17:
	s_mov_b32 s5, 0x7fffff
	v_mov_b32_e32 v17, 0
	v_and_or_b32 v14, v3, s5, 0x800000
	v_mad_u64_u32 v[10:11], null, 0xfe5163ab, v14, 0
	v_mov_b32_e32 v16, v11
	v_add_nc_u32_e32 v11, 0xffffff88, v15
	v_mad_u64_u32 v[18:19], null, 0x3c439041, v14, v[16:17]
	v_cmp_lt_u32_e32 vcc_lo, 63, v11
	v_cndmask_b32_e64 v23, 0, 0xffffffc0, vcc_lo
	v_mov_b32_e32 v16, v19
	v_add_nc_u32_e32 v11, v23, v11
	v_mad_u64_u32 v[19:20], null, 0xdb629599, v14, v[16:17]
	v_cmp_lt_u32_e64 s5, 31, v11
	v_mov_b32_e32 v16, v20
	v_cndmask_b32_e64 v24, 0, 0xffffffe0, s5
	v_cndmask_b32_e32 v10, v19, v10, vcc_lo
	v_mad_u64_u32 v[20:21], null, 0xf534ddc0, v14, v[16:17]
	v_add_nc_u32_e32 v11, v24, v11
	v_cmp_lt_u32_e64 s6, 31, v11
	v_mov_b32_e32 v16, v21
	v_mad_u64_u32 v[21:22], null, 0xfc2757d1, v14, v[16:17]
	v_mov_b32_e32 v16, v22
	v_mad_u64_u32 v[22:23], null, 0x4e441529, v14, v[16:17]
	v_mov_b32_e32 v16, v23
	v_cndmask_b32_e32 v23, v22, v20, vcc_lo
	v_mad_u64_u32 v[16:17], null, 0xa2f9836e, v14, v[16:17]
	v_cndmask_b32_e64 v14, 0, 0xffffffe0, s6
	v_add_nc_u32_e32 v11, v14, v11
	v_cndmask_b32_e32 v16, v16, v21, vcc_lo
	v_cndmask_b32_e32 v17, v17, v22, vcc_lo
	;; [unrolled: 1-line block ×4, first 2 shown]
	v_sub_nc_u32_e32 v20, 32, v11
	v_cndmask_b32_e64 v18, v16, v23, s5
	v_cndmask_b32_e64 v16, v17, v16, s5
	;; [unrolled: 1-line block ×4, first 2 shown]
	v_cmp_eq_u32_e32 vcc_lo, 0, v11
	v_cndmask_b32_e64 v10, v14, v10, s5
	v_cndmask_b32_e64 v16, v16, v18, s6
	;; [unrolled: 1-line block ×5, first 2 shown]
	v_alignbit_b32 v22, v16, v18, v20
	v_alignbit_b32 v19, v18, v17, v20
	;; [unrolled: 1-line block ×3, first 2 shown]
	v_cndmask_b32_e32 v11, v22, v16, vcc_lo
	v_cndmask_b32_e32 v14, v19, v18, vcc_lo
	;; [unrolled: 1-line block ×3, first 2 shown]
	v_bfe_u32 v16, v11, 29, 1
	v_alignbit_b32 v18, v11, v14, 30
	v_alignbit_b32 v14, v14, v17, 30
	;; [unrolled: 1-line block ×3, first 2 shown]
	v_sub_nc_u32_e32 v19, 0, v16
	v_xor_b32_e32 v18, v18, v19
	v_xor_b32_e32 v14, v14, v19
	;; [unrolled: 1-line block ×3, first 2 shown]
	v_lshrrev_b32_e32 v19, 29, v11
	v_lshrrev_b32_e32 v11, 30, v11
	v_ffbh_u32_e32 v20, v18
	v_add_nc_u32_e32 v11, v16, v11
	v_min_u32_e32 v20, 32, v20
	v_sub_nc_u32_e32 v17, 31, v20
	v_lshlrev_b32_e32 v21, 23, v20
	v_alignbit_b32 v18, v18, v14, v17
	v_alignbit_b32 v10, v14, v10, v17
	v_lshlrev_b32_e32 v14, 31, v19
	v_alignbit_b32 v17, v18, v10, 9
	v_or_b32_e32 v19, 0.5, v14
	v_lshrrev_b32_e32 v18, 9, v18
	v_or_b32_e32 v14, 0x33000000, v14
	v_ffbh_u32_e32 v22, v17
	v_sub_nc_u32_e32 v19, v19, v21
	v_min_u32_e32 v21, 32, v22
	v_or_b32_e32 v18, v18, v19
	v_not_b32_e32 v19, v21
	v_mul_f32_e32 v22, 0x3fc90fda, v18
	v_add_lshl_u32 v20, v21, v20, 23
	v_alignbit_b32 v10, v17, v10, v19
	v_fma_f32 v17, 0x3fc90fda, v18, -v22
	v_sub_nc_u32_e32 v14, v14, v20
	v_lshrrev_b32_e32 v10, 9, v10
	v_fmamk_f32 v17, v18, 0x33a22168, v17
	v_or_b32_e32 v10, v14, v10
	v_fmac_f32_e32 v17, 0x3fc90fda, v10
	v_add_f32_e32 v10, v22, v17
	s_or_saveexec_b32 s5, s11
	v_mul_f32_e64 v17, 0x3f22f983, |v2|
	s_xor_b32 exec_lo, exec_lo, s5
	s_branch .LBB12_19
.LBB12_18:
	s_or_saveexec_b32 s5, s11
	v_mul_f32_e64 v17, 0x3f22f983, |v2|
	s_xor_b32 exec_lo, exec_lo, s5
.LBB12_19:
	v_rndne_f32_e32 v11, v17
	v_fma_f32 v10, 0xbfc90fda, v11, |v2|
	v_fmamk_f32 v10, v11, 0xb3a22168, v10
	v_fmamk_f32 v10, v11, 0xa7c234c4, v10
	v_cvt_i32_f32_e32 v11, v11
; %bb.20:
	s_or_b32 exec_lo, exec_lo, s5
                                        ; implicit-def: $vgpr16
                                        ; implicit-def: $vgpr14
	s_and_saveexec_b32 s5, s7
	s_xor_b32 s7, exec_lo, s5
	s_cbranch_execz .LBB12_22
; %bb.21:
	s_mov_b32 s5, 0x7fffff
	v_mov_b32_e32 v18, 0
	v_and_or_b32 v24, v3, s5, 0x800000
	v_mad_u64_u32 v[16:17], null, 0xfe5163ab, v24, 0
	v_mad_u64_u32 v[19:20], null, 0x3c439041, v24, v[17:18]
	v_mov_b32_e32 v17, v20
	v_mad_u64_u32 v[20:21], null, 0xdb629599, v24, v[17:18]
	v_mov_b32_e32 v17, v21
	;; [unrolled: 2-line block ×3, first 2 shown]
	v_add_nc_u32_e32 v22, 0xffffff88, v15
	v_mad_u64_u32 v[14:15], null, 0xfc2757d1, v24, v[17:18]
	v_cmp_lt_u32_e32 vcc_lo, 63, v22
	v_cndmask_b32_e64 v23, 0, 0xffffffc0, vcc_lo
	v_mov_b32_e32 v17, v15
	v_cndmask_b32_e32 v19, v21, v19, vcc_lo
	v_cndmask_b32_e32 v16, v20, v16, vcc_lo
	v_add_nc_u32_e32 v15, v23, v22
	v_mad_u64_u32 v[22:23], null, 0x4e441529, v24, v[17:18]
	v_cmp_lt_u32_e64 s5, 31, v15
	v_mov_b32_e32 v17, v23
	v_cndmask_b32_e64 v25, 0, 0xffffffe0, s5
	v_cndmask_b32_e64 v16, v19, v16, s5
	v_mad_u64_u32 v[17:18], null, 0xa2f9836e, v24, v[17:18]
	v_add_nc_u32_e32 v15, v25, v15
	v_cndmask_b32_e32 v24, v22, v21, vcc_lo
	v_cmp_lt_u32_e64 s6, 31, v15
	v_cndmask_b32_e32 v17, v17, v14, vcc_lo
	v_cndmask_b32_e32 v18, v18, v22, vcc_lo
	;; [unrolled: 1-line block ×3, first 2 shown]
	v_cndmask_b32_e64 v23, 0, 0xffffffe0, s6
	v_cndmask_b32_e64 v21, v17, v24, s5
	;; [unrolled: 1-line block ×5, first 2 shown]
	v_add_nc_u32_e32 v15, v23, v15
	v_cndmask_b32_e64 v17, v17, v21, s6
	v_cndmask_b32_e64 v21, v21, v18, s6
	;; [unrolled: 1-line block ×3, first 2 shown]
	v_sub_nc_u32_e32 v22, 32, v15
	v_cmp_eq_u32_e32 vcc_lo, 0, v15
	v_cndmask_b32_e64 v14, v14, v16, s6
	v_alignbit_b32 v23, v17, v21, v22
	v_alignbit_b32 v20, v21, v18, v22
	v_cndmask_b32_e32 v15, v23, v17, vcc_lo
	v_cndmask_b32_e32 v17, v20, v21, vcc_lo
	v_alignbit_b32 v21, v18, v14, v22
	v_bfe_u32 v19, v15, 29, 1
	v_alignbit_b32 v16, v15, v17, 30
	v_cndmask_b32_e32 v18, v21, v18, vcc_lo
	v_sub_nc_u32_e32 v20, 0, v19
	v_alignbit_b32 v17, v17, v18, 30
	v_alignbit_b32 v14, v18, v14, 30
	v_xor_b32_e32 v16, v16, v20
	v_xor_b32_e32 v17, v17, v20
	v_xor_b32_e32 v14, v14, v20
	v_lshrrev_b32_e32 v20, 29, v15
	v_ffbh_u32_e32 v21, v16
	v_lshrrev_b32_e32 v15, 30, v15
	v_min_u32_e32 v21, 32, v21
	v_sub_nc_u32_e32 v18, 31, v21
	v_lshlrev_b32_e32 v22, 23, v21
	v_alignbit_b32 v16, v16, v17, v18
	v_alignbit_b32 v14, v17, v14, v18
	v_lshlrev_b32_e32 v17, 31, v20
	v_alignbit_b32 v18, v16, v14, 9
	v_or_b32_e32 v20, 0.5, v17
	v_lshrrev_b32_e32 v16, 9, v16
	v_or_b32_e32 v17, 0x33000000, v17
	v_ffbh_u32_e32 v23, v18
	v_sub_nc_u32_e32 v20, v20, v22
	v_min_u32_e32 v22, 32, v23
	v_or_b32_e32 v16, v16, v20
	v_not_b32_e32 v20, v22
	v_mul_f32_e32 v23, 0x3fc90fda, v16
	v_add_lshl_u32 v21, v22, v21, 23
	v_alignbit_b32 v14, v18, v14, v20
	v_fma_f32 v18, 0x3fc90fda, v16, -v23
	v_sub_nc_u32_e32 v17, v17, v21
	v_lshrrev_b32_e32 v14, 9, v14
	v_fmamk_f32 v16, v16, 0x33a22168, v18
	v_or_b32_e32 v14, v17, v14
                                        ; implicit-def: $vgpr17
	v_fmac_f32_e32 v16, 0x3fc90fda, v14
	v_add_f32_e32 v14, v23, v16
	v_add_nc_u32_e32 v16, v19, v15
	s_andn2_saveexec_b32 s5, s7
	s_cbranch_execnz .LBB12_23
	s_branch .LBB12_24
.LBB12_22:
	s_andn2_saveexec_b32 s5, s7
.LBB12_23:
	v_rndne_f32_e32 v15, v17
	v_fma_f32 v14, 0xbfc90fda, v15, |v2|
	v_cvt_i32_f32_e32 v16, v15
	v_fmamk_f32 v14, v15, 0xb3a22168, v14
	v_fmamk_f32 v14, v15, 0xa7c234c4, v14
.LBB12_24:
	s_or_b32 exec_lo, exec_lo, s5
	v_div_scale_f32 v15, null, v13, v13, 0x40a00000
	v_div_scale_f32 v19, vcc_lo, 0x40a00000, v13, 0x40a00000
	s_mov_b32 s5, 0xb94c1982
	v_rcp_f32_e32 v17, v15
	v_mul_f32_e32 v26, 0x4f800000, v13
	s_mov_b32 s6, 0x37d75334
	v_and_b32_e32 v21, 1, v16
	v_xor_b32_e32 v3, v3, v2
	v_lshlrev_b32_e32 v16, 30, v16
	v_and_b32_e32 v16, 0x80000000, v16
	v_fma_f32 v18, -v15, v17, 1.0
	v_fmac_f32_e32 v17, v18, v17
	v_mul_f32_e32 v18, v19, v17
	v_fma_f32 v20, -v15, v18, v19
	v_fmac_f32_e32 v18, v20, v17
	v_mul_f32_e32 v20, v14, v14
	v_fma_f32 v15, -v15, v18, v19
	v_fmaak_f32 v29, s5, v20, 0x3c0881c4
	v_fmaak_f32 v30, s6, v20, 0xbab64f3b
	v_div_fmas_f32 v15, v15, v17, v18
	v_mul_f32_e32 v17, v10, v10
	v_fmaak_f32 v30, v20, v30, 0x3d2aabf7
	v_and_b32_e32 v18, 1, v11
	v_fmaak_f32 v29, v20, v29, 0xbe2aaa9d
	v_div_fixup_f32 v15, v15, v13, 0x40a00000
	v_fmaak_f32 v27, s5, v17, 0x3c0881c4
	v_cmp_gt_f32_e64 s5, 0xf800000, v13
	v_fmaak_f32 v28, s6, v17, 0xbab64f3b
	v_fmaak_f32 v30, v20, v30, 0xbf000004
	v_mul_f32_e32 v19, v15, v15
	v_fmaak_f32 v27, v17, v27, 0xbe2aaa9d
	v_cndmask_b32_e64 v13, v13, v26, s5
	v_fmaak_f32 v28, v17, v28, 0x3d2aabf7
	v_mul_f32_e32 v29, v20, v29
	v_fmaak_f32 v22, 0, v19, 0x3d513fd3
	v_fmaak_f32 v23, 0, v19, 0x3a15c4d9
	;; [unrolled: 1-line block ×4, first 2 shown]
	v_mul_f32_e32 v27, v17, v27
	v_fmaak_f32 v22, v19, v22, 0x409f6dae
	v_fmaak_f32 v23, v19, v23, 0x3d8cfeeb
	v_fmaak_f32 v24, v19, v24, 0x3d95ca45
	v_fmaak_f32 v25, v19, v25, 0x44840e5d
	v_fmaak_f32 v28, v17, v28, 0xbf000004
	v_fmaak_f32 v22, v19, v22, 0x4297a5cd
	v_fmaak_f32 v23, v19, v23, 0x3f8d754e
	v_fmaak_f32 v24, v19, v24, 0x3f9047f6
	v_fmaak_f32 v25, v19, v25, 0x459bd349
	v_fmac_f32_e32 v10, v10, v27
	v_fmaak_f32 v22, v19, v22, 0x43b763ca
	v_fmaak_f32 v23, v19, v23, 0x40a25d18
	;; [unrolled: 1-line block ×4, first 2 shown]
	v_sqrt_f32_e32 v33, v13
	v_fmaak_f32 v22, v19, v22, 0x4431b6ce
	v_fmaak_f32 v23, v19, v23, 0x410665cf
	v_fmaak_f32 v24, v19, v24, 0x4106c8e4
	v_fmaak_f32 v25, v19, v25, 0x45f9e855
	v_fma_f32 v17, v17, v28, 1.0
	v_fmaak_f32 v22, v19, v22, 0x44155f56
	v_fmaak_f32 v23, v19, v23, 0x40a6b6ea
	;; [unrolled: 1-line block ×4, first 2 shown]
	v_fma_f32 v20, v20, v30, 1.0
	v_fmaak_f32 v22, v19, v22, 0x4353b052
	v_fma_f32 v23, v19, v23, 1.0
	v_fma_f32 v24, v19, v24, 1.0
	v_fmaak_f32 v25, v19, v25, 0x43a80bfb
	v_cmp_eq_u32_e64 s7, 0, v18
	v_fmaak_f32 v19, v19, v22, 0x41c9a7fa
	v_lshlrev_b32_e32 v11, 30, v11
	v_div_scale_f32 v22, null, v23, v23, v24
	v_div_scale_f32 v36, vcc_lo, v24, v23, v24
	v_div_scale_f32 v31, null, v25, v25, v19
	v_rcp_f32_e32 v26, v22
	v_fmac_f32_e32 v14, v14, v29
	v_cndmask_b32_e64 v10, v17, v10, s7
	v_rcp_f32_e32 v32, v31
	v_cmp_eq_u32_e64 s7, 0, v21
	v_and_b32_e32 v11, 0x80000000, v11
	v_add_nc_u32_e32 v29, -1, v33
	v_cndmask_b32_e64 v14, -v14, v20, s7
	v_fma_f32 v34, -v22, v26, 1.0
	v_fma_f32 v17, -v29, v33, v13
	v_xor3_b32 v3, v3, v11, v10
	v_fma_f32 v35, -v31, v32, 1.0
	v_xor_b32_e32 v14, v16, v14
	v_fmac_f32_e32 v26, v34, v26
	v_div_scale_f32 v34, s6, v19, v25, v19
	v_fmac_f32_e32 v32, v35, v32
	v_add_nc_u32_e32 v35, 1, v33
	v_mul_f32_e32 v27, v36, v26
	v_mul_f32_e32 v28, v34, v32
	v_fma_f32 v18, -v35, v33, v13
	v_fma_f32 v30, -v22, v27, v36
	;; [unrolled: 1-line block ×3, first 2 shown]
	v_fmac_f32_e32 v27, v30, v26
	v_fmac_f32_e32 v28, v37, v32
	v_fma_f32 v20, -v22, v27, v36
	v_fma_f32 v10, -v31, v28, v34
	v_div_fmas_f32 v11, v20, v26, v27
	s_mov_b32 vcc_lo, s6
	v_cmp_ge_f32_e64 s6, 0, v17
	v_div_fmas_f32 v10, v10, v32, v28
	v_cmp_class_f32_e64 vcc_lo, v2, 0x1f8
	v_div_fixup_f32 v11, v11, v23, v24
	v_cndmask_b32_e64 v2, v33, v29, s6
	v_div_fixup_f32 v10, v10, v25, v19
	v_cmp_lt_f32_e64 s6, 0, v18
	v_cndmask_b32_e32 v14, 0x7fc00000, v14, vcc_lo
	v_cndmask_b32_e32 v3, 0x7fc00000, v3, vcc_lo
	v_cmp_class_f32_e64 vcc_lo, v13, 0x260
	v_mul_f32_e32 v10, v15, v10
	v_cndmask_b32_e64 v2, v2, v35, s6
	v_mul_f32_e32 v10, v10, v14
	v_mul_f32_e32 v15, 0x37800000, v2
	v_fmac_f32_e32 v10, v11, v3
	v_cndmask_b32_e64 v2, v2, v15, s5
	v_mul_f32_e32 v3, 0x3f4c422a, v10
	v_cndmask_b32_e32 v2, v2, v13, vcc_lo
	v_div_scale_f32 v10, null, v2, v2, v3
	v_rcp_f32_e32 v11, v10
	v_fma_f32 v13, -v10, v11, 1.0
	v_fmac_f32_e32 v11, v13, v11
	v_div_scale_f32 v13, vcc_lo, v3, v2, v3
	v_mul_f32_e32 v14, v13, v11
	v_fma_f32 v15, -v10, v14, v13
	v_fmac_f32_e32 v14, v15, v11
	v_fma_f32 v10, -v10, v14, v13
	v_div_fmas_f32 v10, v10, v11, v14
	v_div_fixup_f32 v2, v10, v2, v3
.LBB12_25:
	s_or_b32 exec_lo, exec_lo, s10
	v_mov_b32_e32 v11, 0
	v_mov_b32_e32 v10, v11
	;; [unrolled: 1-line block ×3, first 2 shown]
.LBB12_26:
	s_or_b32 exec_lo, exec_lo, s9
	s_mov_b32 s9, exec_lo
	v_cmpx_lt_i32_e64 v8, v4
	s_cbranch_execz .LBB12_44
; %bb.27:
	s_mov_b32 s5, exec_lo
	s_waitcnt vmcnt(0) lgkmcnt(0)
	v_cmpx_ge_f32_e32 0x40a00000, v12
	s_xor_b32 s10, exec_lo, s5
                                        ; implicit-def: $vgpr11
	s_cbranch_execz .LBB12_33
; %bb.28:
	v_mov_b32_e32 v11, 0xff800000
	s_mov_b32 s11, exec_lo
	v_cmpx_neq_f32_e32 0, v12
	s_cbranch_execz .LBB12_32
; %bb.29:
	v_mov_b32_e32 v11, 0x7fc00000
	s_mov_b32 s12, exec_lo
	v_cmpx_nge_f32_e32 0, v12
	s_cbranch_execz .LBB12_31
; %bb.30:
	v_mul_f32_e32 v11, v12, v12
	v_cmp_gt_f32_e64 s5, 0x800000, v12
	v_div_scale_f32 v21, null, v12, v12, -1.0
	v_div_scale_f32 v30, s7, -1.0, v12, -1.0
	v_fmaak_f32 v13, 0, v11, 0x4414934d
	v_fmaak_f32 v14, 0, v11, 0x441b3589
	;; [unrolled: 1-line block ×4, first 2 shown]
	v_cndmask_b32_e64 v20, 0, 32, s5
	v_fmaak_f32 v13, v11, v13, 0x48660b06
	v_fmaak_f32 v14, v11, v14, 0x487af6d0
	;; [unrolled: 1-line block ×4, first 2 shown]
	v_rcp_f32_e32 v22, v21
	v_fmaak_f32 v13, v11, v13, 0x4c8c277d
	v_fmaak_f32 v14, v11, v14, 0x4c9f4aa7
	;; [unrolled: 1-line block ×4, first 2 shown]
	v_ldexp_f32 v20, v12, v20
	v_fmaak_f32 v13, v11, v13, 0x508bc61d
	v_fmaak_f32 v14, v11, v14, 0x50a509fc
	;; [unrolled: 1-line block ×4, first 2 shown]
	v_log_f32_e32 v20, v20
	v_fmaak_f32 v13, v11, v13, 0x5461faf8
	v_fmaak_f32 v14, v11, v14, 0x548a37dc
	;; [unrolled: 1-line block ×3, first 2 shown]
	v_fma_f32 v27, -v21, v22, 1.0
	v_fmaak_f32 v13, v11, v13, 0x580d1937
	v_fmaak_f32 v14, v11, v14, 0x58325852
	;; [unrolled: 1-line block ×3, first 2 shown]
	v_fmac_f32_e32 v22, v27, v22
	v_mul_f32_e32 v31, 0x3f317217, v20
	v_fmaak_f32 v13, v11, v13, 0x5b741f1e
	v_fmaak_f32 v14, v11, v14, 0x5b9f0600
	v_fma_f32 v27, 0x3f317217, v20, -v31
	v_fmaak_f32 v13, v11, v13, 0x5e5c878d
	v_fmaak_f32 v11, v11, v14, 0x5e93bcac
	v_div_scale_f32 v14, null, v13, v13, v15
	v_div_scale_f32 v17, null, v11, v11, v16
	v_div_scale_f32 v25, vcc_lo, v15, v13, v15
	v_rcp_f32_e32 v18, v14
	v_rcp_f32_e32 v19, v17
	v_div_scale_f32 v26, s6, v16, v11, v16
	v_fma_f32 v23, -v14, v18, 1.0
	v_fma_f32 v24, -v17, v19, 1.0
	v_fmac_f32_e32 v18, v23, v18
	v_fmac_f32_e32 v19, v24, v19
	v_mul_f32_e32 v23, v25, v18
	v_mul_f32_e32 v24, v26, v19
	v_fma_f32 v28, -v14, v23, v25
	v_fma_f32 v29, -v17, v24, v26
	v_fmac_f32_e32 v23, v28, v18
	v_fmac_f32_e32 v24, v29, v19
	v_fma_f32 v14, -v14, v23, v25
	v_mul_f32_e32 v25, v30, v22
	v_fma_f32 v17, -v17, v24, v26
	v_div_fmas_f32 v14, v14, v18, v23
	s_mov_b32 vcc_lo, s6
	v_fma_f32 v18, -v21, v25, v30
	v_div_fmas_f32 v17, v17, v19, v24
	v_fmamk_f32 v19, v20, 0x3377d1cf, v27
	v_cmp_gt_f32_e64 vcc_lo, 0x7f800000, |v20|
	v_div_fixup_f32 v13, v14, v13, v15
	v_fmac_f32_e32 v25, v18, v22
	v_div_fixup_f32 v11, v17, v11, v16
	v_fmac_f32_e32 v19, 0x3f317217, v20
	v_fmaak_f32 v16, v12, v12, 0xc16ae95a
	v_fmaak_f32 v17, v12, v12, 0xc244dfb3
	v_fma_f32 v21, -v21, v25, v30
	v_mul_f32_e32 v11, v12, v11
	v_cndmask_b32_e32 v19, v20, v19, vcc_lo
	s_mov_b32 vcc_lo, s7
	v_cndmask_b32_e64 v18, 0, 0x41b17218, s5
	v_mul_f32_e32 v11, v16, v11
	v_div_fmas_f32 v16, v21, v22, v25
	v_sub_f32_e32 v18, v19, v18
	v_mul_f32_e32 v11, v17, v11
	v_div_fixup_f32 v16, v16, v12, -1.0
	v_fmac_f32_e32 v16, v18, v11
	v_mul_f32_e32 v11, 0x3f22f983, v16
	v_fmac_f32_e32 v11, v12, v13
.LBB12_31:
	s_or_b32 exec_lo, exec_lo, s12
.LBB12_32:
	s_or_b32 exec_lo, exec_lo, s11
                                        ; implicit-def: $vgpr12
.LBB12_33:
	s_andn2_saveexec_b32 s10, s10
	s_cbranch_execz .LBB12_43
; %bb.34:
	v_add_f32_e32 v11, 0xc016cbe4, v12
                                        ; implicit-def: $vgpr15
                                        ; implicit-def: $vgpr14
	v_and_b32_e32 v13, 0x7fffffff, v11
	v_cmp_ngt_f32_e64 s7, 0x48000000, |v11|
	v_lshrrev_b32_e32 v17, 23, v13
	s_and_saveexec_b32 s5, s7
	s_xor_b32 s11, exec_lo, s5
	s_cbranch_execz .LBB12_36
; %bb.35:
	s_mov_b32 s5, 0x7fffff
	v_mov_b32_e32 v16, 0
	v_and_or_b32 v24, v13, s5, 0x800000
	v_add_nc_u32_e32 v23, 0xffffff88, v17
	v_mad_u64_u32 v[14:15], null, 0xfe5163ab, v24, 0
	v_cmp_lt_u32_e32 vcc_lo, 63, v23
	v_cndmask_b32_e64 v25, 0, 0xffffffc0, vcc_lo
	v_mad_u64_u32 v[18:19], null, 0x3c439041, v24, v[15:16]
	v_add_nc_u32_e32 v25, v25, v23
	v_mov_b32_e32 v15, v19
	v_cmp_lt_u32_e64 s5, 31, v25
	v_mad_u64_u32 v[19:20], null, 0xdb629599, v24, v[15:16]
	v_cndmask_b32_e64 v26, 0, 0xffffffe0, s5
	v_mov_b32_e32 v15, v20
	v_cndmask_b32_e32 v14, v19, v14, vcc_lo
	v_mad_u64_u32 v[20:21], null, 0xf534ddc0, v24, v[15:16]
	v_mov_b32_e32 v15, v21
	v_cndmask_b32_e32 v18, v20, v18, vcc_lo
	v_mad_u64_u32 v[21:22], null, 0xfc2757d1, v24, v[15:16]
	v_cndmask_b32_e64 v14, v18, v14, s5
	v_mov_b32_e32 v15, v22
	v_mad_u64_u32 v[22:23], null, 0x4e441529, v24, v[15:16]
	v_mov_b32_e32 v15, v23
	v_add_nc_u32_e32 v23, v26, v25
	v_cndmask_b32_e32 v25, v22, v20, vcc_lo
	v_mad_u64_u32 v[15:16], null, 0xa2f9836e, v24, v[15:16]
	v_cmp_lt_u32_e64 s6, 31, v23
	v_cndmask_b32_e64 v24, 0, 0xffffffe0, s6
	v_cndmask_b32_e32 v15, v15, v21, vcc_lo
	v_cndmask_b32_e32 v16, v16, v22, vcc_lo
	;; [unrolled: 1-line block ×3, first 2 shown]
	v_add_nc_u32_e32 v22, v24, v23
	v_cndmask_b32_e64 v20, v15, v25, s5
	v_cndmask_b32_e64 v15, v16, v15, s5
	;; [unrolled: 1-line block ×4, first 2 shown]
	v_sub_nc_u32_e32 v23, 32, v22
	v_cmp_eq_u32_e32 vcc_lo, 0, v22
	v_cndmask_b32_e64 v15, v15, v20, s6
	v_cndmask_b32_e64 v20, v20, v16, s6
	;; [unrolled: 1-line block ×4, first 2 shown]
	v_alignbit_b32 v24, v15, v20, v23
	v_alignbit_b32 v19, v20, v16, v23
	;; [unrolled: 1-line block ×3, first 2 shown]
	v_cndmask_b32_e32 v15, v24, v15, vcc_lo
	v_cndmask_b32_e32 v18, v19, v20, vcc_lo
	;; [unrolled: 1-line block ×3, first 2 shown]
	v_bfe_u32 v19, v15, 29, 1
	v_alignbit_b32 v20, v15, v18, 30
	v_alignbit_b32 v18, v18, v16, 30
	;; [unrolled: 1-line block ×3, first 2 shown]
	v_sub_nc_u32_e32 v21, 0, v19
	v_xor_b32_e32 v20, v20, v21
	v_xor_b32_e32 v16, v18, v21
	;; [unrolled: 1-line block ×3, first 2 shown]
	v_lshrrev_b32_e32 v21, 29, v15
	v_lshrrev_b32_e32 v15, 30, v15
	v_ffbh_u32_e32 v22, v20
	v_add_nc_u32_e32 v15, v19, v15
	v_min_u32_e32 v22, 32, v22
	v_sub_nc_u32_e32 v18, 31, v22
	v_lshlrev_b32_e32 v23, 23, v22
	v_alignbit_b32 v20, v20, v16, v18
	v_alignbit_b32 v14, v16, v14, v18
	v_lshlrev_b32_e32 v16, 31, v21
	v_alignbit_b32 v18, v20, v14, 9
	v_or_b32_e32 v21, 0.5, v16
	v_lshrrev_b32_e32 v20, 9, v20
	v_or_b32_e32 v16, 0x33000000, v16
	v_ffbh_u32_e32 v24, v18
	v_sub_nc_u32_e32 v21, v21, v23
	v_min_u32_e32 v23, 32, v24
	v_or_b32_e32 v20, v20, v21
	v_not_b32_e32 v21, v23
	v_mul_f32_e32 v24, 0x3fc90fda, v20
	v_add_lshl_u32 v22, v23, v22, 23
	v_alignbit_b32 v14, v18, v14, v21
	v_fma_f32 v18, 0x3fc90fda, v20, -v24
	v_sub_nc_u32_e32 v16, v16, v22
	v_lshrrev_b32_e32 v14, 9, v14
	v_fmamk_f32 v18, v20, 0x33a22168, v18
	v_or_b32_e32 v14, v16, v14
	v_fmac_f32_e32 v18, 0x3fc90fda, v14
	v_add_f32_e32 v14, v24, v18
	s_or_saveexec_b32 s5, s11
	v_mul_f32_e64 v19, 0x3f22f983, |v11|
	s_xor_b32 exec_lo, exec_lo, s5
	s_branch .LBB12_37
.LBB12_36:
	s_or_saveexec_b32 s5, s11
	v_mul_f32_e64 v19, 0x3f22f983, |v11|
	s_xor_b32 exec_lo, exec_lo, s5
.LBB12_37:
	v_rndne_f32_e32 v15, v19
	v_fma_f32 v14, 0xbfc90fda, v15, |v11|
	v_fmamk_f32 v14, v15, 0xb3a22168, v14
	v_fmamk_f32 v14, v15, 0xa7c234c4, v14
	v_cvt_i32_f32_e32 v15, v15
; %bb.38:
	s_or_b32 exec_lo, exec_lo, s5
                                        ; implicit-def: $vgpr18
                                        ; implicit-def: $vgpr16
	s_and_saveexec_b32 s5, s7
	s_xor_b32 s7, exec_lo, s5
	s_cbranch_execz .LBB12_40
; %bb.39:
	s_mov_b32 s5, 0x7fffff
	v_mov_b32_e32 v20, 0
	v_and_or_b32 v26, v13, s5, 0x800000
	v_mad_u64_u32 v[18:19], null, 0xfe5163ab, v26, 0
	v_mad_u64_u32 v[21:22], null, 0x3c439041, v26, v[19:20]
	v_mov_b32_e32 v19, v22
	v_mad_u64_u32 v[22:23], null, 0xdb629599, v26, v[19:20]
	v_mov_b32_e32 v19, v23
	;; [unrolled: 2-line block ×3, first 2 shown]
	v_add_nc_u32_e32 v24, 0xffffff88, v17
	v_mad_u64_u32 v[16:17], null, 0xfc2757d1, v26, v[19:20]
	v_cmp_lt_u32_e32 vcc_lo, 63, v24
	v_cndmask_b32_e64 v25, 0, 0xffffffc0, vcc_lo
	v_mov_b32_e32 v19, v17
	v_cndmask_b32_e32 v21, v23, v21, vcc_lo
	v_cndmask_b32_e32 v18, v22, v18, vcc_lo
	v_add_nc_u32_e32 v17, v25, v24
	v_mad_u64_u32 v[24:25], null, 0x4e441529, v26, v[19:20]
	v_cmp_lt_u32_e64 s5, 31, v17
	v_mov_b32_e32 v19, v25
	v_cndmask_b32_e64 v27, 0, 0xffffffe0, s5
	v_cndmask_b32_e64 v18, v21, v18, s5
	v_mad_u64_u32 v[19:20], null, 0xa2f9836e, v26, v[19:20]
	v_add_nc_u32_e32 v17, v27, v17
	v_cndmask_b32_e32 v26, v24, v23, vcc_lo
	v_cmp_lt_u32_e64 s6, 31, v17
	v_cndmask_b32_e32 v19, v19, v16, vcc_lo
	v_cndmask_b32_e32 v20, v20, v24, vcc_lo
	;; [unrolled: 1-line block ×3, first 2 shown]
	v_cndmask_b32_e64 v25, 0, 0xffffffe0, s6
	v_cndmask_b32_e64 v23, v19, v26, s5
	;; [unrolled: 1-line block ×5, first 2 shown]
	v_add_nc_u32_e32 v17, v25, v17
	v_cndmask_b32_e64 v19, v19, v23, s6
	v_cndmask_b32_e64 v23, v23, v20, s6
	;; [unrolled: 1-line block ×3, first 2 shown]
	v_sub_nc_u32_e32 v24, 32, v17
	v_cmp_eq_u32_e32 vcc_lo, 0, v17
	v_cndmask_b32_e64 v16, v16, v18, s6
	v_alignbit_b32 v25, v19, v23, v24
	v_alignbit_b32 v22, v23, v20, v24
	v_cndmask_b32_e32 v17, v25, v19, vcc_lo
	v_cndmask_b32_e32 v19, v22, v23, vcc_lo
	v_alignbit_b32 v23, v20, v16, v24
	v_bfe_u32 v21, v17, 29, 1
	v_alignbit_b32 v18, v17, v19, 30
	v_cndmask_b32_e32 v20, v23, v20, vcc_lo
	v_sub_nc_u32_e32 v22, 0, v21
	v_alignbit_b32 v19, v19, v20, 30
	v_alignbit_b32 v16, v20, v16, 30
	v_xor_b32_e32 v18, v18, v22
	v_xor_b32_e32 v19, v19, v22
	;; [unrolled: 1-line block ×3, first 2 shown]
	v_lshrrev_b32_e32 v22, 29, v17
	v_ffbh_u32_e32 v23, v18
	v_lshrrev_b32_e32 v17, 30, v17
	v_min_u32_e32 v23, 32, v23
	v_sub_nc_u32_e32 v20, 31, v23
	v_lshlrev_b32_e32 v24, 23, v23
	v_alignbit_b32 v18, v18, v19, v20
	v_alignbit_b32 v16, v19, v16, v20
	v_lshlrev_b32_e32 v19, 31, v22
	v_alignbit_b32 v20, v18, v16, 9
	v_or_b32_e32 v22, 0.5, v19
	v_lshrrev_b32_e32 v18, 9, v18
	v_or_b32_e32 v19, 0x33000000, v19
	v_ffbh_u32_e32 v25, v20
	v_sub_nc_u32_e32 v22, v22, v24
	v_min_u32_e32 v24, 32, v25
	v_or_b32_e32 v18, v18, v22
	v_not_b32_e32 v22, v24
	v_mul_f32_e32 v25, 0x3fc90fda, v18
	v_add_lshl_u32 v23, v24, v23, 23
	v_alignbit_b32 v16, v20, v16, v22
	v_fma_f32 v20, 0x3fc90fda, v18, -v25
	v_sub_nc_u32_e32 v19, v19, v23
	v_lshrrev_b32_e32 v16, 9, v16
	v_fmamk_f32 v18, v18, 0x33a22168, v20
	v_or_b32_e32 v16, v19, v16
                                        ; implicit-def: $vgpr19
	v_fmac_f32_e32 v18, 0x3fc90fda, v16
	v_add_f32_e32 v16, v25, v18
	v_add_nc_u32_e32 v18, v21, v17
	s_andn2_saveexec_b32 s5, s7
	s_cbranch_execnz .LBB12_41
	s_branch .LBB12_42
.LBB12_40:
	s_andn2_saveexec_b32 s5, s7
.LBB12_41:
	v_rndne_f32_e32 v17, v19
	v_fma_f32 v16, 0xbfc90fda, v17, |v11|
	v_cvt_i32_f32_e32 v18, v17
	v_fmamk_f32 v16, v17, 0xb3a22168, v16
	v_fmamk_f32 v16, v17, 0xa7c234c4, v16
.LBB12_42:
	s_or_b32 exec_lo, exec_lo, s5
	v_div_scale_f32 v17, null, v12, v12, 0x40a00000
	v_div_scale_f32 v21, vcc_lo, 0x40a00000, v12, 0x40a00000
	s_mov_b32 s5, 0xb94c1982
	v_rcp_f32_e32 v19, v17
	v_mul_f32_e32 v28, 0x4f800000, v12
	s_mov_b32 s6, 0x37d75334
	v_and_b32_e32 v23, 1, v18
	v_xor_b32_e32 v13, v13, v11
	v_lshlrev_b32_e32 v18, 30, v18
	v_and_b32_e32 v18, 0x80000000, v18
	v_fma_f32 v20, -v17, v19, 1.0
	v_fmac_f32_e32 v19, v20, v19
	v_mul_f32_e32 v20, v21, v19
	v_fma_f32 v22, -v17, v20, v21
	v_fmac_f32_e32 v20, v22, v19
	v_mul_f32_e32 v22, v16, v16
	v_fma_f32 v17, -v17, v20, v21
	v_fmaak_f32 v31, s5, v22, 0x3c0881c4
	v_fmaak_f32 v32, s6, v22, 0xbab64f3b
	v_div_fmas_f32 v17, v17, v19, v20
	v_mul_f32_e32 v19, v14, v14
	v_fmaak_f32 v32, v22, v32, 0x3d2aabf7
	v_and_b32_e32 v20, 1, v15
	v_fmaak_f32 v31, v22, v31, 0xbe2aaa9d
	v_div_fixup_f32 v17, v17, v12, 0x40a00000
	v_fmaak_f32 v29, s5, v19, 0x3c0881c4
	v_cmp_gt_f32_e64 s5, 0xf800000, v12
	v_fmaak_f32 v30, s6, v19, 0xbab64f3b
	v_fmaak_f32 v32, v22, v32, 0xbf000004
	v_mul_f32_e32 v21, v17, v17
	v_fmaak_f32 v29, v19, v29, 0xbe2aaa9d
	v_cndmask_b32_e64 v12, v12, v28, s5
	v_fmaak_f32 v30, v19, v30, 0x3d2aabf7
	v_mul_f32_e32 v31, v22, v31
	v_fmaak_f32 v24, 0, v21, 0x3d513fd3
	v_fmaak_f32 v25, 0, v21, 0x3a15c4d9
	;; [unrolled: 1-line block ×4, first 2 shown]
	v_mul_f32_e32 v29, v19, v29
	v_fmaak_f32 v24, v21, v24, 0x409f6dae
	v_fmaak_f32 v25, v21, v25, 0x3d8cfeeb
	;; [unrolled: 1-line block ×9, first 2 shown]
	v_fmac_f32_e32 v14, v14, v29
	v_fmaak_f32 v24, v21, v24, 0x43b763ca
	v_fmaak_f32 v25, v21, v25, 0x40a25d18
	;; [unrolled: 1-line block ×4, first 2 shown]
	v_sqrt_f32_e32 v35, v12
	v_fmaak_f32 v24, v21, v24, 0x4431b6ce
	v_fmaak_f32 v25, v21, v25, 0x410665cf
	;; [unrolled: 1-line block ×4, first 2 shown]
	v_fma_f32 v19, v19, v30, 1.0
	v_fmaak_f32 v24, v21, v24, 0x44155f56
	v_fmaak_f32 v25, v21, v25, 0x40a6b6ea
	;; [unrolled: 1-line block ×4, first 2 shown]
	v_fma_f32 v22, v22, v32, 1.0
	v_fmaak_f32 v24, v21, v24, 0x4353b052
	v_fma_f32 v25, v21, v25, 1.0
	v_fma_f32 v26, v21, v26, 1.0
	v_fmaak_f32 v27, v21, v27, 0x43a80bfb
	v_cmp_eq_u32_e64 s7, 0, v20
	v_fmaak_f32 v21, v21, v24, 0x41c9a7fa
	v_lshlrev_b32_e32 v15, 30, v15
	v_div_scale_f32 v24, null, v25, v25, v26
	v_div_scale_f32 v38, vcc_lo, v26, v25, v26
	v_div_scale_f32 v33, null, v27, v27, v21
	v_rcp_f32_e32 v28, v24
	v_fmac_f32_e32 v16, v16, v31
	v_cndmask_b32_e64 v14, v19, v14, s7
	v_rcp_f32_e32 v34, v33
	v_cmp_eq_u32_e64 s7, 0, v23
	v_and_b32_e32 v15, 0x80000000, v15
	v_add_nc_u32_e32 v31, -1, v35
	v_cndmask_b32_e64 v16, -v16, v22, s7
	v_fma_f32 v36, -v24, v28, 1.0
	v_fma_f32 v19, -v31, v35, v12
	v_xor3_b32 v13, v13, v15, v14
	v_fma_f32 v37, -v33, v34, 1.0
	v_xor_b32_e32 v16, v18, v16
	v_fmac_f32_e32 v28, v36, v28
	v_div_scale_f32 v36, s6, v21, v27, v21
	v_fmac_f32_e32 v34, v37, v34
	v_add_nc_u32_e32 v37, 1, v35
	v_mul_f32_e32 v29, v38, v28
	v_mul_f32_e32 v30, v36, v34
	v_fma_f32 v20, -v37, v35, v12
	v_fma_f32 v32, -v24, v29, v38
	;; [unrolled: 1-line block ×3, first 2 shown]
	v_fmac_f32_e32 v29, v32, v28
	v_fmac_f32_e32 v30, v39, v34
	v_fma_f32 v22, -v24, v29, v38
	v_fma_f32 v14, -v33, v30, v36
	v_div_fmas_f32 v15, v22, v28, v29
	s_mov_b32 vcc_lo, s6
	v_cmp_ge_f32_e64 s6, 0, v19
	v_div_fmas_f32 v14, v14, v34, v30
	v_cmp_class_f32_e64 vcc_lo, v11, 0x1f8
	v_div_fixup_f32 v15, v15, v25, v26
	v_cndmask_b32_e64 v11, v35, v31, s6
	v_div_fixup_f32 v14, v14, v27, v21
	v_cmp_lt_f32_e64 s6, 0, v20
	v_cndmask_b32_e32 v16, 0x7fc00000, v16, vcc_lo
	v_cndmask_b32_e32 v13, 0x7fc00000, v13, vcc_lo
	v_cmp_class_f32_e64 vcc_lo, v12, 0x260
	v_mul_f32_e32 v14, v17, v14
	v_cndmask_b32_e64 v11, v11, v37, s6
	v_mul_f32_e32 v14, v14, v16
	v_mul_f32_e32 v17, 0x37800000, v11
	v_fmac_f32_e32 v14, v15, v13
	v_cndmask_b32_e64 v11, v11, v17, s5
	v_cndmask_b32_e32 v11, v11, v12, vcc_lo
	v_mul_f32_e32 v12, 0x3f4c422a, v14
	v_div_scale_f32 v13, null, v11, v11, v12
	v_rcp_f32_e32 v14, v13
	v_fma_f32 v15, -v13, v14, 1.0
	v_fmac_f32_e32 v14, v15, v14
	v_div_scale_f32 v15, vcc_lo, v12, v11, v12
	v_mul_f32_e32 v16, v15, v14
	v_fma_f32 v17, -v13, v16, v15
	v_fmac_f32_e32 v16, v17, v14
	v_fma_f32 v13, -v13, v16, v15
	v_div_fmas_f32 v13, v13, v14, v16
	v_div_fixup_f32 v11, v13, v11, v12
.LBB12_43:
	s_or_b32 exec_lo, exec_lo, s10
.LBB12_44:
	s_or_b32 exec_lo, exec_lo, s9
	s_waitcnt vmcnt(0) lgkmcnt(0)
	v_add_nc_u32_e32 v12, 0x200, v7
	s_mov_b32 s9, exec_lo
	v_cmpx_lt_i32_e64 v12, v4
	s_cbranch_execz .LBB12_62
; %bb.45:
	s_mov_b32 s5, exec_lo
	v_cmpx_ge_f32_e32 0x40a00000, v9
	s_xor_b32 s10, exec_lo, s5
                                        ; implicit-def: $vgpr10
	s_cbranch_execz .LBB12_51
; %bb.46:
	v_mov_b32_e32 v10, 0xff800000
	s_mov_b32 s11, exec_lo
	v_cmpx_neq_f32_e32 0, v9
	s_cbranch_execz .LBB12_50
; %bb.47:
	v_mov_b32_e32 v10, 0x7fc00000
	s_mov_b32 s12, exec_lo
	v_cmpx_nge_f32_e32 0, v9
	s_cbranch_execz .LBB12_49
; %bb.48:
	v_mul_f32_e32 v10, v9, v9
	v_cmp_gt_f32_e64 s5, 0x800000, v9
	v_div_scale_f32 v20, null, v9, v9, -1.0
	v_div_scale_f32 v29, s7, -1.0, v9, -1.0
	v_fmaak_f32 v12, 0, v10, 0x4414934d
	v_fmaak_f32 v13, 0, v10, 0x441b3589
	;; [unrolled: 1-line block ×4, first 2 shown]
	v_cndmask_b32_e64 v19, 0, 32, s5
	v_fmaak_f32 v12, v10, v12, 0x48660b06
	v_fmaak_f32 v13, v10, v13, 0x487af6d0
	;; [unrolled: 1-line block ×4, first 2 shown]
	v_rcp_f32_e32 v21, v20
	v_fmaak_f32 v12, v10, v12, 0x4c8c277d
	v_fmaak_f32 v13, v10, v13, 0x4c9f4aa7
	;; [unrolled: 1-line block ×4, first 2 shown]
	v_ldexp_f32 v19, v9, v19
	v_fmaak_f32 v12, v10, v12, 0x508bc61d
	v_fmaak_f32 v13, v10, v13, 0x50a509fc
	;; [unrolled: 1-line block ×4, first 2 shown]
	v_log_f32_e32 v19, v19
	v_fmaak_f32 v12, v10, v12, 0x5461faf8
	v_fmaak_f32 v13, v10, v13, 0x548a37dc
	;; [unrolled: 1-line block ×3, first 2 shown]
	v_fma_f32 v26, -v20, v21, 1.0
	v_fmaak_f32 v12, v10, v12, 0x580d1937
	v_fmaak_f32 v13, v10, v13, 0x58325852
	;; [unrolled: 1-line block ×3, first 2 shown]
	v_fmac_f32_e32 v21, v26, v21
	v_mul_f32_e32 v30, 0x3f317217, v19
	v_fmaak_f32 v12, v10, v12, 0x5b741f1e
	v_fmaak_f32 v13, v10, v13, 0x5b9f0600
	v_fma_f32 v26, 0x3f317217, v19, -v30
	v_fmaak_f32 v12, v10, v12, 0x5e5c878d
	v_fmaak_f32 v10, v10, v13, 0x5e93bcac
	v_div_scale_f32 v13, null, v12, v12, v14
	v_div_scale_f32 v16, null, v10, v10, v15
	v_div_scale_f32 v24, vcc_lo, v14, v12, v14
	v_rcp_f32_e32 v17, v13
	v_rcp_f32_e32 v18, v16
	v_div_scale_f32 v25, s6, v15, v10, v15
	v_fma_f32 v22, -v13, v17, 1.0
	v_fma_f32 v23, -v16, v18, 1.0
	v_fmac_f32_e32 v17, v22, v17
	v_fmac_f32_e32 v18, v23, v18
	v_mul_f32_e32 v22, v24, v17
	v_mul_f32_e32 v23, v25, v18
	v_fma_f32 v27, -v13, v22, v24
	v_fma_f32 v28, -v16, v23, v25
	v_fmac_f32_e32 v22, v27, v17
	v_fmac_f32_e32 v23, v28, v18
	v_fma_f32 v13, -v13, v22, v24
	v_mul_f32_e32 v24, v29, v21
	v_fma_f32 v16, -v16, v23, v25
	v_div_fmas_f32 v13, v13, v17, v22
	s_mov_b32 vcc_lo, s6
	v_fma_f32 v17, -v20, v24, v29
	v_div_fmas_f32 v16, v16, v18, v23
	v_fmamk_f32 v18, v19, 0x3377d1cf, v26
	v_cmp_gt_f32_e64 vcc_lo, 0x7f800000, |v19|
	v_div_fixup_f32 v12, v13, v12, v14
	v_fmac_f32_e32 v24, v17, v21
	v_div_fixup_f32 v10, v16, v10, v15
	v_fmac_f32_e32 v18, 0x3f317217, v19
	v_fmaak_f32 v15, v9, v9, 0xc16ae95a
	v_fmaak_f32 v16, v9, v9, 0xc244dfb3
	v_fma_f32 v20, -v20, v24, v29
	v_mul_f32_e32 v10, v9, v10
	v_cndmask_b32_e32 v18, v19, v18, vcc_lo
	s_mov_b32 vcc_lo, s7
	v_cndmask_b32_e64 v17, 0, 0x41b17218, s5
	v_mul_f32_e32 v10, v15, v10
	v_div_fmas_f32 v15, v20, v21, v24
	v_sub_f32_e32 v17, v18, v17
	v_mul_f32_e32 v10, v16, v10
	v_div_fixup_f32 v15, v15, v9, -1.0
	v_fmac_f32_e32 v15, v17, v10
	v_mul_f32_e32 v10, 0x3f22f983, v15
	v_fmac_f32_e32 v10, v9, v12
.LBB12_49:
	s_or_b32 exec_lo, exec_lo, s12
.LBB12_50:
	s_or_b32 exec_lo, exec_lo, s11
                                        ; implicit-def: $vgpr9
.LBB12_51:
	s_andn2_saveexec_b32 s10, s10
	s_cbranch_execz .LBB12_61
; %bb.52:
	v_add_f32_e32 v10, 0xc016cbe4, v9
                                        ; implicit-def: $vgpr14
                                        ; implicit-def: $vgpr13
	v_and_b32_e32 v12, 0x7fffffff, v10
	v_cmp_ngt_f32_e64 s7, 0x48000000, |v10|
	v_lshrrev_b32_e32 v16, 23, v12
	s_and_saveexec_b32 s5, s7
	s_xor_b32 s11, exec_lo, s5
	s_cbranch_execz .LBB12_54
; %bb.53:
	s_mov_b32 s5, 0x7fffff
	v_mov_b32_e32 v15, 0
	v_and_or_b32 v23, v12, s5, 0x800000
	v_add_nc_u32_e32 v22, 0xffffff88, v16
	v_mad_u64_u32 v[13:14], null, 0xfe5163ab, v23, 0
	v_cmp_lt_u32_e32 vcc_lo, 63, v22
	v_cndmask_b32_e64 v24, 0, 0xffffffc0, vcc_lo
	v_mad_u64_u32 v[17:18], null, 0x3c439041, v23, v[14:15]
	v_add_nc_u32_e32 v24, v24, v22
	v_mov_b32_e32 v14, v18
	v_cmp_lt_u32_e64 s5, 31, v24
	v_mad_u64_u32 v[18:19], null, 0xdb629599, v23, v[14:15]
	v_cndmask_b32_e64 v25, 0, 0xffffffe0, s5
	v_mov_b32_e32 v14, v19
	v_cndmask_b32_e32 v13, v18, v13, vcc_lo
	v_mad_u64_u32 v[19:20], null, 0xf534ddc0, v23, v[14:15]
	v_mov_b32_e32 v14, v20
	v_cndmask_b32_e32 v17, v19, v17, vcc_lo
	v_mad_u64_u32 v[20:21], null, 0xfc2757d1, v23, v[14:15]
	v_cndmask_b32_e64 v13, v17, v13, s5
	v_mov_b32_e32 v14, v21
	v_mad_u64_u32 v[21:22], null, 0x4e441529, v23, v[14:15]
	v_mov_b32_e32 v14, v22
	v_add_nc_u32_e32 v22, v25, v24
	v_cndmask_b32_e32 v24, v21, v19, vcc_lo
	v_mad_u64_u32 v[14:15], null, 0xa2f9836e, v23, v[14:15]
	v_cmp_lt_u32_e64 s6, 31, v22
	v_cndmask_b32_e64 v23, 0, 0xffffffe0, s6
	v_cndmask_b32_e32 v14, v14, v20, vcc_lo
	v_cndmask_b32_e32 v15, v15, v21, vcc_lo
	;; [unrolled: 1-line block ×3, first 2 shown]
	v_add_nc_u32_e32 v21, v23, v22
	v_cndmask_b32_e64 v19, v14, v24, s5
	v_cndmask_b32_e64 v14, v15, v14, s5
	;; [unrolled: 1-line block ×4, first 2 shown]
	v_sub_nc_u32_e32 v22, 32, v21
	v_cmp_eq_u32_e32 vcc_lo, 0, v21
	v_cndmask_b32_e64 v14, v14, v19, s6
	v_cndmask_b32_e64 v19, v19, v15, s6
	;; [unrolled: 1-line block ×4, first 2 shown]
	v_alignbit_b32 v23, v14, v19, v22
	v_alignbit_b32 v18, v19, v15, v22
	;; [unrolled: 1-line block ×3, first 2 shown]
	v_cndmask_b32_e32 v14, v23, v14, vcc_lo
	v_cndmask_b32_e32 v17, v18, v19, vcc_lo
	;; [unrolled: 1-line block ×3, first 2 shown]
	v_bfe_u32 v18, v14, 29, 1
	v_alignbit_b32 v19, v14, v17, 30
	v_alignbit_b32 v17, v17, v15, 30
	;; [unrolled: 1-line block ×3, first 2 shown]
	v_sub_nc_u32_e32 v20, 0, v18
	v_xor_b32_e32 v19, v19, v20
	v_xor_b32_e32 v15, v17, v20
	;; [unrolled: 1-line block ×3, first 2 shown]
	v_lshrrev_b32_e32 v20, 29, v14
	v_lshrrev_b32_e32 v14, 30, v14
	v_ffbh_u32_e32 v21, v19
	v_add_nc_u32_e32 v14, v18, v14
	v_min_u32_e32 v21, 32, v21
	v_sub_nc_u32_e32 v17, 31, v21
	v_lshlrev_b32_e32 v22, 23, v21
	v_alignbit_b32 v19, v19, v15, v17
	v_alignbit_b32 v13, v15, v13, v17
	v_lshlrev_b32_e32 v15, 31, v20
	v_alignbit_b32 v17, v19, v13, 9
	v_or_b32_e32 v20, 0.5, v15
	v_lshrrev_b32_e32 v19, 9, v19
	v_or_b32_e32 v15, 0x33000000, v15
	v_ffbh_u32_e32 v23, v17
	v_sub_nc_u32_e32 v20, v20, v22
	v_min_u32_e32 v22, 32, v23
	v_or_b32_e32 v19, v19, v20
	v_not_b32_e32 v20, v22
	v_mul_f32_e32 v23, 0x3fc90fda, v19
	v_add_lshl_u32 v21, v22, v21, 23
	v_alignbit_b32 v13, v17, v13, v20
	v_fma_f32 v17, 0x3fc90fda, v19, -v23
	v_sub_nc_u32_e32 v15, v15, v21
	v_lshrrev_b32_e32 v13, 9, v13
	v_fmamk_f32 v17, v19, 0x33a22168, v17
	v_or_b32_e32 v13, v15, v13
	v_fmac_f32_e32 v17, 0x3fc90fda, v13
	v_add_f32_e32 v13, v23, v17
	s_or_saveexec_b32 s5, s11
	v_mul_f32_e64 v18, 0x3f22f983, |v10|
	s_xor_b32 exec_lo, exec_lo, s5
	s_branch .LBB12_55
.LBB12_54:
	s_or_saveexec_b32 s5, s11
	v_mul_f32_e64 v18, 0x3f22f983, |v10|
	s_xor_b32 exec_lo, exec_lo, s5
.LBB12_55:
	v_rndne_f32_e32 v14, v18
	v_fma_f32 v13, 0xbfc90fda, v14, |v10|
	v_fmamk_f32 v13, v14, 0xb3a22168, v13
	v_fmamk_f32 v13, v14, 0xa7c234c4, v13
	v_cvt_i32_f32_e32 v14, v14
; %bb.56:
	s_or_b32 exec_lo, exec_lo, s5
                                        ; implicit-def: $vgpr17
                                        ; implicit-def: $vgpr15
	s_and_saveexec_b32 s5, s7
	s_xor_b32 s7, exec_lo, s5
	s_cbranch_execz .LBB12_58
; %bb.57:
	s_mov_b32 s5, 0x7fffff
	v_mov_b32_e32 v19, 0
	v_and_or_b32 v25, v12, s5, 0x800000
	v_mad_u64_u32 v[17:18], null, 0xfe5163ab, v25, 0
	v_mad_u64_u32 v[20:21], null, 0x3c439041, v25, v[18:19]
	v_mov_b32_e32 v18, v21
	v_mad_u64_u32 v[21:22], null, 0xdb629599, v25, v[18:19]
	v_mov_b32_e32 v18, v22
	;; [unrolled: 2-line block ×3, first 2 shown]
	v_add_nc_u32_e32 v23, 0xffffff88, v16
	v_mad_u64_u32 v[15:16], null, 0xfc2757d1, v25, v[18:19]
	v_cmp_lt_u32_e32 vcc_lo, 63, v23
	v_cndmask_b32_e64 v24, 0, 0xffffffc0, vcc_lo
	v_mov_b32_e32 v18, v16
	v_cndmask_b32_e32 v20, v22, v20, vcc_lo
	v_cndmask_b32_e32 v17, v21, v17, vcc_lo
	v_add_nc_u32_e32 v16, v24, v23
	v_mad_u64_u32 v[23:24], null, 0x4e441529, v25, v[18:19]
	v_cmp_lt_u32_e64 s5, 31, v16
	v_mov_b32_e32 v18, v24
	v_cndmask_b32_e64 v26, 0, 0xffffffe0, s5
	v_cndmask_b32_e64 v17, v20, v17, s5
	v_mad_u64_u32 v[18:19], null, 0xa2f9836e, v25, v[18:19]
	v_add_nc_u32_e32 v16, v26, v16
	v_cndmask_b32_e32 v25, v23, v22, vcc_lo
	v_cmp_lt_u32_e64 s6, 31, v16
	v_cndmask_b32_e32 v18, v18, v15, vcc_lo
	v_cndmask_b32_e32 v19, v19, v23, vcc_lo
	;; [unrolled: 1-line block ×3, first 2 shown]
	v_cndmask_b32_e64 v24, 0, 0xffffffe0, s6
	v_cndmask_b32_e64 v22, v18, v25, s5
	;; [unrolled: 1-line block ×5, first 2 shown]
	v_add_nc_u32_e32 v16, v24, v16
	v_cndmask_b32_e64 v18, v18, v22, s6
	v_cndmask_b32_e64 v22, v22, v19, s6
	;; [unrolled: 1-line block ×3, first 2 shown]
	v_sub_nc_u32_e32 v23, 32, v16
	v_cmp_eq_u32_e32 vcc_lo, 0, v16
	v_cndmask_b32_e64 v15, v15, v17, s6
	v_alignbit_b32 v24, v18, v22, v23
	v_alignbit_b32 v21, v22, v19, v23
	v_cndmask_b32_e32 v16, v24, v18, vcc_lo
	v_cndmask_b32_e32 v18, v21, v22, vcc_lo
	v_alignbit_b32 v22, v19, v15, v23
	v_bfe_u32 v20, v16, 29, 1
	v_alignbit_b32 v17, v16, v18, 30
	v_cndmask_b32_e32 v19, v22, v19, vcc_lo
	v_sub_nc_u32_e32 v21, 0, v20
	v_alignbit_b32 v18, v18, v19, 30
	v_alignbit_b32 v15, v19, v15, 30
	v_xor_b32_e32 v17, v17, v21
	v_xor_b32_e32 v18, v18, v21
	;; [unrolled: 1-line block ×3, first 2 shown]
	v_lshrrev_b32_e32 v21, 29, v16
	v_ffbh_u32_e32 v22, v17
	v_lshrrev_b32_e32 v16, 30, v16
	v_min_u32_e32 v22, 32, v22
	v_sub_nc_u32_e32 v19, 31, v22
	v_lshlrev_b32_e32 v23, 23, v22
	v_alignbit_b32 v17, v17, v18, v19
	v_alignbit_b32 v15, v18, v15, v19
	v_lshlrev_b32_e32 v18, 31, v21
	v_alignbit_b32 v19, v17, v15, 9
	v_or_b32_e32 v21, 0.5, v18
	v_lshrrev_b32_e32 v17, 9, v17
	v_or_b32_e32 v18, 0x33000000, v18
	v_ffbh_u32_e32 v24, v19
	v_sub_nc_u32_e32 v21, v21, v23
	v_min_u32_e32 v23, 32, v24
	v_or_b32_e32 v17, v17, v21
	v_not_b32_e32 v21, v23
	v_mul_f32_e32 v24, 0x3fc90fda, v17
	v_add_lshl_u32 v22, v23, v22, 23
	v_alignbit_b32 v15, v19, v15, v21
	v_fma_f32 v19, 0x3fc90fda, v17, -v24
	v_sub_nc_u32_e32 v18, v18, v22
	v_lshrrev_b32_e32 v15, 9, v15
	v_fmamk_f32 v17, v17, 0x33a22168, v19
	v_or_b32_e32 v15, v18, v15
                                        ; implicit-def: $vgpr18
	v_fmac_f32_e32 v17, 0x3fc90fda, v15
	v_add_f32_e32 v15, v24, v17
	v_add_nc_u32_e32 v17, v20, v16
	s_andn2_saveexec_b32 s5, s7
	s_cbranch_execnz .LBB12_59
	s_branch .LBB12_60
.LBB12_58:
	s_andn2_saveexec_b32 s5, s7
.LBB12_59:
	v_rndne_f32_e32 v16, v18
	v_fma_f32 v15, 0xbfc90fda, v16, |v10|
	v_cvt_i32_f32_e32 v17, v16
	v_fmamk_f32 v15, v16, 0xb3a22168, v15
	v_fmamk_f32 v15, v16, 0xa7c234c4, v15
.LBB12_60:
	s_or_b32 exec_lo, exec_lo, s5
	v_div_scale_f32 v16, null, v9, v9, 0x40a00000
	v_div_scale_f32 v20, vcc_lo, 0x40a00000, v9, 0x40a00000
	s_mov_b32 s5, 0xb94c1982
	v_rcp_f32_e32 v18, v16
	v_mul_f32_e32 v27, 0x4f800000, v9
	s_mov_b32 s6, 0x37d75334
	v_and_b32_e32 v22, 1, v17
	v_xor_b32_e32 v12, v12, v10
	v_lshlrev_b32_e32 v17, 30, v17
	v_and_b32_e32 v17, 0x80000000, v17
	v_fma_f32 v19, -v16, v18, 1.0
	v_fmac_f32_e32 v18, v19, v18
	v_mul_f32_e32 v19, v20, v18
	v_fma_f32 v21, -v16, v19, v20
	v_fmac_f32_e32 v19, v21, v18
	v_mul_f32_e32 v21, v15, v15
	v_fma_f32 v16, -v16, v19, v20
	v_fmaak_f32 v30, s5, v21, 0x3c0881c4
	v_fmaak_f32 v31, s6, v21, 0xbab64f3b
	v_div_fmas_f32 v16, v16, v18, v19
	v_mul_f32_e32 v18, v13, v13
	v_fmaak_f32 v31, v21, v31, 0x3d2aabf7
	v_and_b32_e32 v19, 1, v14
	v_fmaak_f32 v30, v21, v30, 0xbe2aaa9d
	v_div_fixup_f32 v16, v16, v9, 0x40a00000
	v_fmaak_f32 v28, s5, v18, 0x3c0881c4
	v_cmp_gt_f32_e64 s5, 0xf800000, v9
	v_fmaak_f32 v29, s6, v18, 0xbab64f3b
	v_fmaak_f32 v31, v21, v31, 0xbf000004
	v_mul_f32_e32 v20, v16, v16
	v_fmaak_f32 v28, v18, v28, 0xbe2aaa9d
	v_cndmask_b32_e64 v9, v9, v27, s5
	v_fmaak_f32 v29, v18, v29, 0x3d2aabf7
	v_mul_f32_e32 v30, v21, v30
	v_fmaak_f32 v23, 0, v20, 0x3d513fd3
	v_fmaak_f32 v24, 0, v20, 0x3a15c4d9
	v_fmaak_f32 v25, 0, v20, 0x3a47c962
	v_fmaak_f32 v26, 0, v20, 0x42947983
	v_mul_f32_e32 v28, v18, v28
	v_fmaak_f32 v23, v20, v23, 0x409f6dae
	v_fmaak_f32 v24, v20, v24, 0x3d8cfeeb
	;; [unrolled: 1-line block ×9, first 2 shown]
	v_fmac_f32_e32 v13, v13, v28
	v_fmaak_f32 v23, v20, v23, 0x43b763ca
	v_fmaak_f32 v24, v20, v24, 0x40a25d18
	;; [unrolled: 1-line block ×4, first 2 shown]
	v_sqrt_f32_e32 v34, v9
	v_fmaak_f32 v23, v20, v23, 0x4431b6ce
	v_fmaak_f32 v24, v20, v24, 0x410665cf
	v_fmaak_f32 v25, v20, v25, 0x4106c8e4
	v_fmaak_f32 v26, v20, v26, 0x45f9e855
	v_fma_f32 v18, v18, v29, 1.0
	v_fmaak_f32 v23, v20, v23, 0x44155f56
	v_fmaak_f32 v24, v20, v24, 0x40a6b6ea
	;; [unrolled: 1-line block ×4, first 2 shown]
	v_fma_f32 v21, v21, v31, 1.0
	v_fmaak_f32 v23, v20, v23, 0x4353b052
	v_fma_f32 v24, v20, v24, 1.0
	v_fma_f32 v25, v20, v25, 1.0
	v_fmaak_f32 v26, v20, v26, 0x43a80bfb
	v_cmp_eq_u32_e64 s7, 0, v19
	v_fmaak_f32 v20, v20, v23, 0x41c9a7fa
	v_lshlrev_b32_e32 v14, 30, v14
	v_div_scale_f32 v23, null, v24, v24, v25
	v_div_scale_f32 v37, vcc_lo, v25, v24, v25
	v_div_scale_f32 v32, null, v26, v26, v20
	v_rcp_f32_e32 v27, v23
	v_fmac_f32_e32 v15, v15, v30
	v_cndmask_b32_e64 v13, v18, v13, s7
	v_rcp_f32_e32 v33, v32
	v_cmp_eq_u32_e64 s7, 0, v22
	v_and_b32_e32 v14, 0x80000000, v14
	v_add_nc_u32_e32 v30, -1, v34
	v_cndmask_b32_e64 v15, -v15, v21, s7
	v_fma_f32 v35, -v23, v27, 1.0
	v_fma_f32 v18, -v30, v34, v9
	v_xor3_b32 v12, v12, v14, v13
	v_fma_f32 v36, -v32, v33, 1.0
	v_xor_b32_e32 v15, v17, v15
	v_fmac_f32_e32 v27, v35, v27
	v_div_scale_f32 v35, s6, v20, v26, v20
	v_fmac_f32_e32 v33, v36, v33
	v_add_nc_u32_e32 v36, 1, v34
	v_mul_f32_e32 v28, v37, v27
	v_mul_f32_e32 v29, v35, v33
	v_fma_f32 v19, -v36, v34, v9
	v_fma_f32 v31, -v23, v28, v37
	;; [unrolled: 1-line block ×3, first 2 shown]
	v_fmac_f32_e32 v28, v31, v27
	v_fmac_f32_e32 v29, v38, v33
	v_fma_f32 v21, -v23, v28, v37
	v_fma_f32 v13, -v32, v29, v35
	v_div_fmas_f32 v14, v21, v27, v28
	s_mov_b32 vcc_lo, s6
	v_cmp_ge_f32_e64 s6, 0, v18
	v_div_fmas_f32 v13, v13, v33, v29
	v_cmp_class_f32_e64 vcc_lo, v10, 0x1f8
	v_div_fixup_f32 v14, v14, v24, v25
	v_cndmask_b32_e64 v10, v34, v30, s6
	v_div_fixup_f32 v13, v13, v26, v20
	v_cmp_lt_f32_e64 s6, 0, v19
	v_cndmask_b32_e32 v15, 0x7fc00000, v15, vcc_lo
	v_cndmask_b32_e32 v12, 0x7fc00000, v12, vcc_lo
	v_cmp_class_f32_e64 vcc_lo, v9, 0x260
	v_mul_f32_e32 v13, v16, v13
	v_cndmask_b32_e64 v10, v10, v36, s6
	v_mul_f32_e32 v13, v13, v15
	v_mul_f32_e32 v16, 0x37800000, v10
	v_fmac_f32_e32 v13, v14, v12
	v_cndmask_b32_e64 v10, v10, v16, s5
	v_cndmask_b32_e32 v9, v10, v9, vcc_lo
	v_mul_f32_e32 v10, 0x3f4c422a, v13
	v_div_scale_f32 v12, null, v9, v9, v10
	v_rcp_f32_e32 v13, v12
	v_fma_f32 v14, -v12, v13, 1.0
	v_fmac_f32_e32 v13, v14, v13
	v_div_scale_f32 v14, vcc_lo, v10, v9, v10
	v_mul_f32_e32 v15, v14, v13
	v_fma_f32 v16, -v12, v15, v14
	v_fmac_f32_e32 v15, v16, v13
	v_fma_f32 v12, -v12, v15, v14
	v_div_fmas_f32 v12, v12, v13, v15
	v_div_fixup_f32 v10, v12, v9, v10
.LBB12_61:
	s_or_b32 exec_lo, exec_lo, s10
.LBB12_62:
	s_or_b32 exec_lo, exec_lo, s9
	v_add_nc_u32_e32 v9, 0x300, v7
	s_mov_b32 s9, exec_lo
	v_cmpx_lt_i32_e64 v9, v4
	s_cbranch_execz .LBB12_72
; %bb.63:
	s_mov_b32 s5, exec_lo
	v_cmpx_ge_f32_e32 0x40a00000, v6
	s_xor_b32 s10, exec_lo, s5
                                        ; implicit-def: $vgpr3
	s_cbranch_execz .LBB12_69
; %bb.64:
	v_mov_b32_e32 v3, 0xff800000
	s_mov_b32 s11, exec_lo
	v_cmpx_neq_f32_e32 0, v6
	s_cbranch_execz .LBB12_68
; %bb.65:
	v_mov_b32_e32 v3, 0x7fc00000
	s_mov_b32 s12, exec_lo
	v_cmpx_nge_f32_e32 0, v6
	s_cbranch_execz .LBB12_67
; %bb.66:
	v_mul_f32_e32 v3, v6, v6
	v_cmp_gt_f32_e64 s5, 0x800000, v6
	v_div_scale_f32 v19, null, v6, v6, -1.0
	v_div_scale_f32 v28, s7, -1.0, v6, -1.0
	v_fmaak_f32 v9, 0, v3, 0x4414934d
	v_fmaak_f32 v12, 0, v3, 0x441b3589
	;; [unrolled: 1-line block ×4, first 2 shown]
	v_cndmask_b32_e64 v18, 0, 32, s5
	v_fmaak_f32 v9, v3, v9, 0x48660b06
	v_fmaak_f32 v12, v3, v12, 0x487af6d0
	;; [unrolled: 1-line block ×4, first 2 shown]
	v_rcp_f32_e32 v20, v19
	v_fmaak_f32 v9, v3, v9, 0x4c8c277d
	v_fmaak_f32 v12, v3, v12, 0x4c9f4aa7
	;; [unrolled: 1-line block ×4, first 2 shown]
	v_ldexp_f32 v18, v6, v18
	v_fmaak_f32 v9, v3, v9, 0x508bc61d
	v_fmaak_f32 v12, v3, v12, 0x50a509fc
	;; [unrolled: 1-line block ×4, first 2 shown]
	v_log_f32_e32 v18, v18
	v_fmaak_f32 v9, v3, v9, 0x5461faf8
	v_fmaak_f32 v12, v3, v12, 0x548a37dc
	;; [unrolled: 1-line block ×3, first 2 shown]
	v_fma_f32 v25, -v19, v20, 1.0
	v_fmaak_f32 v9, v3, v9, 0x580d1937
	v_fmaak_f32 v12, v3, v12, 0x58325852
	;; [unrolled: 1-line block ×3, first 2 shown]
	v_fmac_f32_e32 v20, v25, v20
	v_mul_f32_e32 v29, 0x3f317217, v18
	v_fmaak_f32 v9, v3, v9, 0x5b741f1e
	v_fmaak_f32 v12, v3, v12, 0x5b9f0600
	v_fma_f32 v25, 0x3f317217, v18, -v29
	v_fmaak_f32 v9, v3, v9, 0x5e5c878d
	v_fmaak_f32 v3, v3, v12, 0x5e93bcac
	v_div_scale_f32 v12, null, v9, v9, v13
	v_div_scale_f32 v15, null, v3, v3, v14
	v_div_scale_f32 v23, vcc_lo, v13, v9, v13
	v_rcp_f32_e32 v16, v12
	v_rcp_f32_e32 v17, v15
	v_div_scale_f32 v24, s6, v14, v3, v14
	v_fma_f32 v21, -v12, v16, 1.0
	v_fma_f32 v22, -v15, v17, 1.0
	v_fmac_f32_e32 v16, v21, v16
	v_fmac_f32_e32 v17, v22, v17
	v_mul_f32_e32 v21, v23, v16
	v_mul_f32_e32 v22, v24, v17
	v_fma_f32 v26, -v12, v21, v23
	v_fma_f32 v27, -v15, v22, v24
	v_fmac_f32_e32 v21, v26, v16
	v_fmac_f32_e32 v22, v27, v17
	v_fma_f32 v12, -v12, v21, v23
	v_mul_f32_e32 v23, v28, v20
	v_fma_f32 v15, -v15, v22, v24
	v_div_fmas_f32 v12, v12, v16, v21
	s_mov_b32 vcc_lo, s6
	v_fma_f32 v16, -v19, v23, v28
	v_div_fmas_f32 v15, v15, v17, v22
	v_fmamk_f32 v17, v18, 0x3377d1cf, v25
	v_cmp_gt_f32_e64 vcc_lo, 0x7f800000, |v18|
	v_div_fixup_f32 v9, v12, v9, v13
	v_fmac_f32_e32 v23, v16, v20
	v_div_fixup_f32 v3, v15, v3, v14
	v_fmac_f32_e32 v17, 0x3f317217, v18
	v_fmaak_f32 v14, v6, v6, 0xc16ae95a
	v_fmaak_f32 v15, v6, v6, 0xc244dfb3
	v_fma_f32 v19, -v19, v23, v28
	v_mul_f32_e32 v3, v6, v3
	v_cndmask_b32_e32 v17, v18, v17, vcc_lo
	s_mov_b32 vcc_lo, s7
	v_cndmask_b32_e64 v16, 0, 0x41b17218, s5
	v_mul_f32_e32 v3, v14, v3
	v_div_fmas_f32 v14, v19, v20, v23
	v_sub_f32_e32 v16, v17, v16
	v_mul_f32_e32 v3, v15, v3
	v_div_fixup_f32 v14, v14, v6, -1.0
	v_fmac_f32_e32 v14, v16, v3
	v_mul_f32_e32 v3, 0x3f22f983, v14
	v_fmac_f32_e32 v3, v6, v9
.LBB12_67:
	s_or_b32 exec_lo, exec_lo, s12
.LBB12_68:
	s_or_b32 exec_lo, exec_lo, s11
                                        ; implicit-def: $vgpr6
.LBB12_69:
	s_andn2_saveexec_b32 s10, s10
	s_cbranch_execz .LBB12_84
; %bb.70:
	v_add_f32_e32 v3, 0xc016cbe4, v6
                                        ; implicit-def: $vgpr13
                                        ; implicit-def: $vgpr12
	v_and_b32_e32 v9, 0x7fffffff, v3
	v_cmp_ngt_f32_e64 s7, 0x48000000, |v3|
	v_lshrrev_b32_e32 v15, 23, v9
	s_and_saveexec_b32 s5, s7
	s_xor_b32 s11, exec_lo, s5
	s_cbranch_execz .LBB12_77
; %bb.71:
	s_mov_b32 s5, 0x7fffff
	v_mov_b32_e32 v14, 0
	v_and_or_b32 v22, v9, s5, 0x800000
	v_add_nc_u32_e32 v21, 0xffffff88, v15
	v_mad_u64_u32 v[12:13], null, 0xfe5163ab, v22, 0
	v_cmp_lt_u32_e32 vcc_lo, 63, v21
	v_cndmask_b32_e64 v23, 0, 0xffffffc0, vcc_lo
	v_mad_u64_u32 v[16:17], null, 0x3c439041, v22, v[13:14]
	v_add_nc_u32_e32 v23, v23, v21
	v_mov_b32_e32 v13, v17
	v_cmp_lt_u32_e64 s5, 31, v23
	v_mad_u64_u32 v[17:18], null, 0xdb629599, v22, v[13:14]
	v_cndmask_b32_e64 v24, 0, 0xffffffe0, s5
	v_mov_b32_e32 v13, v18
	v_cndmask_b32_e32 v12, v17, v12, vcc_lo
	v_mad_u64_u32 v[18:19], null, 0xf534ddc0, v22, v[13:14]
	v_mov_b32_e32 v13, v19
	v_cndmask_b32_e32 v16, v18, v16, vcc_lo
	v_mad_u64_u32 v[19:20], null, 0xfc2757d1, v22, v[13:14]
	v_cndmask_b32_e64 v12, v16, v12, s5
	v_mov_b32_e32 v13, v20
	v_mad_u64_u32 v[20:21], null, 0x4e441529, v22, v[13:14]
	v_mov_b32_e32 v13, v21
	v_add_nc_u32_e32 v21, v24, v23
	v_cndmask_b32_e32 v23, v20, v18, vcc_lo
	v_mad_u64_u32 v[13:14], null, 0xa2f9836e, v22, v[13:14]
	v_cmp_lt_u32_e64 s6, 31, v21
	v_cndmask_b32_e64 v22, 0, 0xffffffe0, s6
	v_cndmask_b32_e32 v13, v13, v19, vcc_lo
	v_cndmask_b32_e32 v14, v14, v20, vcc_lo
	;; [unrolled: 1-line block ×3, first 2 shown]
	v_add_nc_u32_e32 v20, v22, v21
	v_cndmask_b32_e64 v18, v13, v23, s5
	v_cndmask_b32_e64 v13, v14, v13, s5
	;; [unrolled: 1-line block ×4, first 2 shown]
	v_sub_nc_u32_e32 v21, 32, v20
	v_cmp_eq_u32_e32 vcc_lo, 0, v20
	v_cndmask_b32_e64 v13, v13, v18, s6
	v_cndmask_b32_e64 v18, v18, v14, s6
	;; [unrolled: 1-line block ×4, first 2 shown]
	v_alignbit_b32 v22, v13, v18, v21
	v_alignbit_b32 v17, v18, v14, v21
	;; [unrolled: 1-line block ×3, first 2 shown]
	v_cndmask_b32_e32 v13, v22, v13, vcc_lo
	v_cndmask_b32_e32 v16, v17, v18, vcc_lo
	;; [unrolled: 1-line block ×3, first 2 shown]
	v_bfe_u32 v17, v13, 29, 1
	v_alignbit_b32 v18, v13, v16, 30
	v_alignbit_b32 v16, v16, v14, 30
	v_alignbit_b32 v12, v14, v12, 30
	v_sub_nc_u32_e32 v19, 0, v17
	v_xor_b32_e32 v18, v18, v19
	v_xor_b32_e32 v14, v16, v19
	;; [unrolled: 1-line block ×3, first 2 shown]
	v_lshrrev_b32_e32 v19, 29, v13
	v_lshrrev_b32_e32 v13, 30, v13
	v_ffbh_u32_e32 v20, v18
	v_add_nc_u32_e32 v13, v17, v13
	v_min_u32_e32 v20, 32, v20
	v_sub_nc_u32_e32 v16, 31, v20
	v_lshlrev_b32_e32 v21, 23, v20
	v_alignbit_b32 v18, v18, v14, v16
	v_alignbit_b32 v12, v14, v12, v16
	v_lshlrev_b32_e32 v14, 31, v19
	v_alignbit_b32 v16, v18, v12, 9
	v_or_b32_e32 v19, 0.5, v14
	v_lshrrev_b32_e32 v18, 9, v18
	v_or_b32_e32 v14, 0x33000000, v14
	v_ffbh_u32_e32 v22, v16
	v_sub_nc_u32_e32 v19, v19, v21
	v_min_u32_e32 v21, 32, v22
	v_or_b32_e32 v18, v18, v19
	v_not_b32_e32 v19, v21
	v_mul_f32_e32 v22, 0x3fc90fda, v18
	v_add_lshl_u32 v20, v21, v20, 23
	v_alignbit_b32 v12, v16, v12, v19
	v_fma_f32 v16, 0x3fc90fda, v18, -v22
	v_sub_nc_u32_e32 v14, v14, v20
	v_lshrrev_b32_e32 v12, 9, v12
	v_fmamk_f32 v16, v18, 0x33a22168, v16
	v_or_b32_e32 v12, v14, v12
	v_fmac_f32_e32 v16, 0x3fc90fda, v12
	v_add_f32_e32 v12, v22, v16
	s_or_saveexec_b32 s5, s11
	v_mul_f32_e64 v17, 0x3f22f983, |v3|
	s_xor_b32 exec_lo, exec_lo, s5
	s_branch .LBB12_78
.LBB12_72:
	s_or_b32 exec_lo, exec_lo, s9
	s_and_saveexec_b32 s5, s4
	s_xor_b32 s4, exec_lo, s5
	s_cbranch_execz .LBB12_85
.LBB12_73:
	v_mov_b32_e32 v6, 0
	v_mov_b32_e32 v7, v8
	v_lshlrev_b64 v[5:6], 2, v[5:6]
	v_add_co_u32 v5, vcc_lo, v0, v5
	v_add_co_ci_u32_e64 v6, null, v1, v6, vcc_lo
	flat_store_dword v[5:6], v2
	s_or_b32 exec_lo, exec_lo, s4
	s_mov_b32 s4, exec_lo
	v_cmpx_lt_i32_e64 v7, v4
	s_cbranch_execnz .LBB12_86
.LBB12_74:
	s_or_b32 exec_lo, exec_lo, s4
	s_mov_b32 s4, exec_lo
	v_cmpx_lt_i32_e64 v7, v4
	s_cbranch_execz .LBB12_87
.LBB12_75:
	v_add_nc_u32_e32 v5, s8, v7
	v_mov_b32_e32 v6, 0
	v_add_nc_u32_e32 v7, 0x100, v7
	v_lshlrev_b64 v[5:6], 2, v[5:6]
	v_add_co_u32 v5, vcc_lo, v0, v5
	v_add_co_ci_u32_e64 v6, null, v1, v6, vcc_lo
	flat_store_dword v[5:6], v10
	s_or_b32 exec_lo, exec_lo, s4
	s_mov_b32 s4, exec_lo
	v_cmpx_lt_i32_e64 v7, v4
	s_cbranch_execnz .LBB12_88
.LBB12_76:
	s_or_b32 exec_lo, exec_lo, s4
	s_waitcnt lgkmcnt(0)
	s_setpc_b64 s[30:31]
.LBB12_77:
	s_or_saveexec_b32 s5, s11
	v_mul_f32_e64 v17, 0x3f22f983, |v3|
	s_xor_b32 exec_lo, exec_lo, s5
.LBB12_78:
	v_rndne_f32_e32 v13, v17
	v_fma_f32 v12, 0xbfc90fda, v13, |v3|
	v_fmamk_f32 v12, v13, 0xb3a22168, v12
	v_fmamk_f32 v12, v13, 0xa7c234c4, v12
	v_cvt_i32_f32_e32 v13, v13
; %bb.79:
	s_or_b32 exec_lo, exec_lo, s5
                                        ; implicit-def: $vgpr16
                                        ; implicit-def: $vgpr14
	s_and_saveexec_b32 s5, s7
	s_xor_b32 s7, exec_lo, s5
	s_cbranch_execz .LBB12_81
; %bb.80:
	s_mov_b32 s5, 0x7fffff
	v_mov_b32_e32 v18, 0
	v_and_or_b32 v24, v9, s5, 0x800000
	v_mad_u64_u32 v[16:17], null, 0xfe5163ab, v24, 0
	v_mad_u64_u32 v[19:20], null, 0x3c439041, v24, v[17:18]
	v_mov_b32_e32 v17, v20
	v_mad_u64_u32 v[20:21], null, 0xdb629599, v24, v[17:18]
	v_mov_b32_e32 v17, v21
	;; [unrolled: 2-line block ×3, first 2 shown]
	v_add_nc_u32_e32 v22, 0xffffff88, v15
	v_mad_u64_u32 v[14:15], null, 0xfc2757d1, v24, v[17:18]
	v_cmp_lt_u32_e32 vcc_lo, 63, v22
	v_cndmask_b32_e64 v23, 0, 0xffffffc0, vcc_lo
	v_mov_b32_e32 v17, v15
	v_cndmask_b32_e32 v19, v21, v19, vcc_lo
	v_cndmask_b32_e32 v16, v20, v16, vcc_lo
	v_add_nc_u32_e32 v15, v23, v22
	v_mad_u64_u32 v[22:23], null, 0x4e441529, v24, v[17:18]
	v_cmp_lt_u32_e64 s5, 31, v15
	v_mov_b32_e32 v17, v23
	v_cndmask_b32_e64 v25, 0, 0xffffffe0, s5
	v_cndmask_b32_e64 v16, v19, v16, s5
	v_mad_u64_u32 v[17:18], null, 0xa2f9836e, v24, v[17:18]
	v_add_nc_u32_e32 v15, v25, v15
	v_cndmask_b32_e32 v24, v22, v21, vcc_lo
	v_cmp_lt_u32_e64 s6, 31, v15
	v_cndmask_b32_e32 v17, v17, v14, vcc_lo
	v_cndmask_b32_e32 v18, v18, v22, vcc_lo
	;; [unrolled: 1-line block ×3, first 2 shown]
	v_cndmask_b32_e64 v23, 0, 0xffffffe0, s6
	v_cndmask_b32_e64 v21, v17, v24, s5
	;; [unrolled: 1-line block ×5, first 2 shown]
	v_add_nc_u32_e32 v15, v23, v15
	v_cndmask_b32_e64 v17, v17, v21, s6
	v_cndmask_b32_e64 v21, v21, v18, s6
	;; [unrolled: 1-line block ×3, first 2 shown]
	v_sub_nc_u32_e32 v22, 32, v15
	v_cmp_eq_u32_e32 vcc_lo, 0, v15
	v_cndmask_b32_e64 v14, v14, v16, s6
	v_alignbit_b32 v23, v17, v21, v22
	v_alignbit_b32 v20, v21, v18, v22
	v_cndmask_b32_e32 v15, v23, v17, vcc_lo
	v_cndmask_b32_e32 v17, v20, v21, vcc_lo
	v_alignbit_b32 v21, v18, v14, v22
	v_bfe_u32 v19, v15, 29, 1
	v_alignbit_b32 v16, v15, v17, 30
	v_cndmask_b32_e32 v18, v21, v18, vcc_lo
	v_sub_nc_u32_e32 v20, 0, v19
	v_alignbit_b32 v17, v17, v18, 30
	v_alignbit_b32 v14, v18, v14, 30
	v_xor_b32_e32 v16, v16, v20
	v_xor_b32_e32 v17, v17, v20
	;; [unrolled: 1-line block ×3, first 2 shown]
	v_lshrrev_b32_e32 v20, 29, v15
	v_ffbh_u32_e32 v21, v16
	v_lshrrev_b32_e32 v15, 30, v15
	v_min_u32_e32 v21, 32, v21
	v_sub_nc_u32_e32 v18, 31, v21
	v_lshlrev_b32_e32 v22, 23, v21
	v_alignbit_b32 v16, v16, v17, v18
	v_alignbit_b32 v14, v17, v14, v18
	v_lshlrev_b32_e32 v17, 31, v20
	v_alignbit_b32 v18, v16, v14, 9
	v_or_b32_e32 v20, 0.5, v17
	v_lshrrev_b32_e32 v16, 9, v16
	v_or_b32_e32 v17, 0x33000000, v17
	v_ffbh_u32_e32 v23, v18
	v_sub_nc_u32_e32 v20, v20, v22
	v_min_u32_e32 v22, 32, v23
	v_or_b32_e32 v16, v16, v20
	v_not_b32_e32 v20, v22
	v_mul_f32_e32 v23, 0x3fc90fda, v16
	v_add_lshl_u32 v21, v22, v21, 23
	v_alignbit_b32 v14, v18, v14, v20
	v_fma_f32 v18, 0x3fc90fda, v16, -v23
	v_sub_nc_u32_e32 v17, v17, v21
	v_lshrrev_b32_e32 v14, 9, v14
	v_fmamk_f32 v16, v16, 0x33a22168, v18
	v_or_b32_e32 v14, v17, v14
                                        ; implicit-def: $vgpr17
	v_fmac_f32_e32 v16, 0x3fc90fda, v14
	v_add_f32_e32 v14, v23, v16
	v_add_nc_u32_e32 v16, v19, v15
	s_andn2_saveexec_b32 s5, s7
	s_cbranch_execnz .LBB12_82
	s_branch .LBB12_83
.LBB12_81:
	s_andn2_saveexec_b32 s5, s7
.LBB12_82:
	v_rndne_f32_e32 v15, v17
	v_fma_f32 v14, 0xbfc90fda, v15, |v3|
	v_cvt_i32_f32_e32 v16, v15
	v_fmamk_f32 v14, v15, 0xb3a22168, v14
	v_fmamk_f32 v14, v15, 0xa7c234c4, v14
.LBB12_83:
	s_or_b32 exec_lo, exec_lo, s5
	v_div_scale_f32 v15, null, v6, v6, 0x40a00000
	v_div_scale_f32 v19, vcc_lo, 0x40a00000, v6, 0x40a00000
	s_mov_b32 s5, 0xb94c1982
	v_rcp_f32_e32 v17, v15
	v_mul_f32_e32 v26, 0x4f800000, v6
	s_mov_b32 s6, 0x37d75334
	v_and_b32_e32 v21, 1, v16
	v_xor_b32_e32 v9, v9, v3
	v_lshlrev_b32_e32 v16, 30, v16
	v_and_b32_e32 v16, 0x80000000, v16
	v_fma_f32 v18, -v15, v17, 1.0
	v_fmac_f32_e32 v17, v18, v17
	v_mul_f32_e32 v18, v19, v17
	v_fma_f32 v20, -v15, v18, v19
	v_fmac_f32_e32 v18, v20, v17
	v_mul_f32_e32 v20, v14, v14
	v_fma_f32 v15, -v15, v18, v19
	v_fmaak_f32 v29, s5, v20, 0x3c0881c4
	v_fmaak_f32 v30, s6, v20, 0xbab64f3b
	v_div_fmas_f32 v15, v15, v17, v18
	v_mul_f32_e32 v17, v12, v12
	v_fmaak_f32 v30, v20, v30, 0x3d2aabf7
	v_and_b32_e32 v18, 1, v13
	v_fmaak_f32 v29, v20, v29, 0xbe2aaa9d
	v_div_fixup_f32 v15, v15, v6, 0x40a00000
	v_fmaak_f32 v27, s5, v17, 0x3c0881c4
	v_cmp_gt_f32_e64 s5, 0xf800000, v6
	v_fmaak_f32 v28, s6, v17, 0xbab64f3b
	v_fmaak_f32 v30, v20, v30, 0xbf000004
	v_mul_f32_e32 v19, v15, v15
	v_fmaak_f32 v27, v17, v27, 0xbe2aaa9d
	v_cndmask_b32_e64 v6, v6, v26, s5
	v_fmaak_f32 v28, v17, v28, 0x3d2aabf7
	v_mul_f32_e32 v29, v20, v29
	v_fmaak_f32 v22, 0, v19, 0x3d513fd3
	v_fmaak_f32 v23, 0, v19, 0x3a15c4d9
	;; [unrolled: 1-line block ×4, first 2 shown]
	v_mul_f32_e32 v27, v17, v27
	v_fmaak_f32 v22, v19, v22, 0x409f6dae
	v_fmaak_f32 v23, v19, v23, 0x3d8cfeeb
	;; [unrolled: 1-line block ×9, first 2 shown]
	v_fmac_f32_e32 v12, v12, v27
	v_fmaak_f32 v22, v19, v22, 0x43b763ca
	v_fmaak_f32 v23, v19, v23, 0x40a25d18
	;; [unrolled: 1-line block ×4, first 2 shown]
	v_sqrt_f32_e32 v33, v6
	v_fmaak_f32 v22, v19, v22, 0x4431b6ce
	v_fmaak_f32 v23, v19, v23, 0x410665cf
	;; [unrolled: 1-line block ×4, first 2 shown]
	v_fma_f32 v17, v17, v28, 1.0
	v_fmaak_f32 v22, v19, v22, 0x44155f56
	v_fmaak_f32 v23, v19, v23, 0x40a6b6ea
	;; [unrolled: 1-line block ×4, first 2 shown]
	v_fma_f32 v20, v20, v30, 1.0
	v_fmaak_f32 v22, v19, v22, 0x4353b052
	v_fma_f32 v23, v19, v23, 1.0
	v_fma_f32 v24, v19, v24, 1.0
	v_fmaak_f32 v25, v19, v25, 0x43a80bfb
	v_cmp_eq_u32_e64 s7, 0, v18
	v_fmaak_f32 v19, v19, v22, 0x41c9a7fa
	v_lshlrev_b32_e32 v13, 30, v13
	v_div_scale_f32 v22, null, v23, v23, v24
	v_div_scale_f32 v36, vcc_lo, v24, v23, v24
	v_div_scale_f32 v31, null, v25, v25, v19
	v_rcp_f32_e32 v26, v22
	v_fmac_f32_e32 v14, v14, v29
	v_cndmask_b32_e64 v12, v17, v12, s7
	v_rcp_f32_e32 v32, v31
	v_cmp_eq_u32_e64 s7, 0, v21
	v_and_b32_e32 v13, 0x80000000, v13
	v_add_nc_u32_e32 v29, -1, v33
	v_cndmask_b32_e64 v14, -v14, v20, s7
	v_fma_f32 v34, -v22, v26, 1.0
	v_fma_f32 v17, -v29, v33, v6
	v_xor3_b32 v9, v9, v13, v12
	v_fma_f32 v35, -v31, v32, 1.0
	v_xor_b32_e32 v14, v16, v14
	v_fmac_f32_e32 v26, v34, v26
	v_div_scale_f32 v34, s6, v19, v25, v19
	v_fmac_f32_e32 v32, v35, v32
	v_add_nc_u32_e32 v35, 1, v33
	v_mul_f32_e32 v27, v36, v26
	v_mul_f32_e32 v28, v34, v32
	v_fma_f32 v18, -v35, v33, v6
	v_fma_f32 v30, -v22, v27, v36
	;; [unrolled: 1-line block ×3, first 2 shown]
	v_fmac_f32_e32 v27, v30, v26
	v_fmac_f32_e32 v28, v37, v32
	v_fma_f32 v20, -v22, v27, v36
	v_fma_f32 v12, -v31, v28, v34
	v_div_fmas_f32 v13, v20, v26, v27
	s_mov_b32 vcc_lo, s6
	v_cmp_ge_f32_e64 s6, 0, v17
	v_div_fmas_f32 v12, v12, v32, v28
	v_cmp_class_f32_e64 vcc_lo, v3, 0x1f8
	v_div_fixup_f32 v13, v13, v23, v24
	v_cndmask_b32_e64 v3, v33, v29, s6
	v_div_fixup_f32 v12, v12, v25, v19
	v_cmp_lt_f32_e64 s6, 0, v18
	v_cndmask_b32_e32 v14, 0x7fc00000, v14, vcc_lo
	v_cndmask_b32_e32 v9, 0x7fc00000, v9, vcc_lo
	v_cmp_class_f32_e64 vcc_lo, v6, 0x260
	v_mul_f32_e32 v12, v15, v12
	v_cndmask_b32_e64 v3, v3, v35, s6
	v_mul_f32_e32 v12, v12, v14
	v_mul_f32_e32 v15, 0x37800000, v3
	v_fmac_f32_e32 v12, v13, v9
	v_cndmask_b32_e64 v3, v3, v15, s5
	v_cndmask_b32_e32 v3, v3, v6, vcc_lo
	v_mul_f32_e32 v6, 0x3f4c422a, v12
	v_div_scale_f32 v9, null, v3, v3, v6
	v_rcp_f32_e32 v12, v9
	v_fma_f32 v13, -v9, v12, 1.0
	v_fmac_f32_e32 v12, v13, v12
	v_div_scale_f32 v13, vcc_lo, v6, v3, v6
	v_mul_f32_e32 v14, v13, v12
	v_fma_f32 v15, -v9, v14, v13
	v_fmac_f32_e32 v14, v15, v12
	v_fma_f32 v9, -v9, v14, v13
	v_div_fmas_f32 v9, v9, v12, v14
	v_div_fixup_f32 v3, v9, v3, v6
.LBB12_84:
	s_or_b32 exec_lo, exec_lo, s10
	s_or_b32 exec_lo, exec_lo, s9
	s_and_saveexec_b32 s5, s4
	s_xor_b32 s4, exec_lo, s5
	s_cbranch_execnz .LBB12_73
.LBB12_85:
	s_or_b32 exec_lo, exec_lo, s4
	s_mov_b32 s4, exec_lo
	v_cmpx_lt_i32_e64 v7, v4
	s_cbranch_execz .LBB12_74
.LBB12_86:
	v_add_nc_u32_e32 v5, s8, v7
	v_mov_b32_e32 v6, 0
	v_add_nc_u32_e32 v7, 0x100, v7
	v_lshlrev_b64 v[5:6], 2, v[5:6]
	v_add_co_u32 v5, vcc_lo, v0, v5
	v_add_co_ci_u32_e64 v6, null, v1, v6, vcc_lo
	flat_store_dword v[5:6], v11
	s_or_b32 exec_lo, exec_lo, s4
	s_mov_b32 s4, exec_lo
	v_cmpx_lt_i32_e64 v7, v4
	s_cbranch_execnz .LBB12_75
.LBB12_87:
	s_or_b32 exec_lo, exec_lo, s4
	s_mov_b32 s4, exec_lo
	v_cmpx_lt_i32_e64 v7, v4
	s_cbranch_execz .LBB12_76
.LBB12_88:
	v_add_nc_u32_e32 v4, s8, v7
	v_mov_b32_e32 v5, 0
	v_lshlrev_b64 v[4:5], 2, v[4:5]
	v_add_co_u32 v0, vcc_lo, v0, v4
	v_add_co_ci_u32_e64 v1, null, v1, v5, vcc_lo
	flat_store_dword v[0:1], v3
	s_or_b32 exec_lo, exec_lo, s4
	s_waitcnt lgkmcnt(0)
	s_setpc_b64 s[30:31]
.Lfunc_end12:
	.size	_ZN2at6native25elementwise_kernel_helperILb0EZZZNS0_12_GLOBAL__N_121bessel_y1_kernel_cudaERNS_18TensorIteratorBaseEENKUlvE_clEvENKUlvE0_clEvEUlfE_NS0_6memory8policies11unroll_baseILi256ESt5arrayIPcLm2EE23TrivialOffsetCalculatorILi1EjESF_NS8_15LoadWithoutCastENS8_16StoreWithoutCastELi4ELi1EEEEEvT0_T1_, .Lfunc_end12-_ZN2at6native25elementwise_kernel_helperILb0EZZZNS0_12_GLOBAL__N_121bessel_y1_kernel_cudaERNS_18TensorIteratorBaseEENKUlvE_clEvENKUlvE0_clEvEUlfE_NS0_6memory8policies11unroll_baseILi256ESt5arrayIPcLm2EE23TrivialOffsetCalculatorILi1EjESF_NS8_15LoadWithoutCastENS8_16StoreWithoutCastELi4ELi1EEEEEvT0_T1_
                                        ; -- End function
	.set .L_ZN2at6native25elementwise_kernel_helperILb0EZZZNS0_12_GLOBAL__N_121bessel_y1_kernel_cudaERNS_18TensorIteratorBaseEENKUlvE_clEvENKUlvE0_clEvEUlfE_NS0_6memory8policies11unroll_baseILi256ESt5arrayIPcLm2EE23TrivialOffsetCalculatorILi1EjESF_NS8_15LoadWithoutCastENS8_16StoreWithoutCastELi4ELi1EEEEEvT0_T1_.num_vgpr, 40
	.set .L_ZN2at6native25elementwise_kernel_helperILb0EZZZNS0_12_GLOBAL__N_121bessel_y1_kernel_cudaERNS_18TensorIteratorBaseEENKUlvE_clEvENKUlvE0_clEvEUlfE_NS0_6memory8policies11unroll_baseILi256ESt5arrayIPcLm2EE23TrivialOffsetCalculatorILi1EjESF_NS8_15LoadWithoutCastENS8_16StoreWithoutCastELi4ELi1EEEEEvT0_T1_.num_agpr, 0
	.set .L_ZN2at6native25elementwise_kernel_helperILb0EZZZNS0_12_GLOBAL__N_121bessel_y1_kernel_cudaERNS_18TensorIteratorBaseEENKUlvE_clEvENKUlvE0_clEvEUlfE_NS0_6memory8policies11unroll_baseILi256ESt5arrayIPcLm2EE23TrivialOffsetCalculatorILi1EjESF_NS8_15LoadWithoutCastENS8_16StoreWithoutCastELi4ELi1EEEEEvT0_T1_.numbered_sgpr, 32
	.set .L_ZN2at6native25elementwise_kernel_helperILb0EZZZNS0_12_GLOBAL__N_121bessel_y1_kernel_cudaERNS_18TensorIteratorBaseEENKUlvE_clEvENKUlvE0_clEvEUlfE_NS0_6memory8policies11unroll_baseILi256ESt5arrayIPcLm2EE23TrivialOffsetCalculatorILi1EjESF_NS8_15LoadWithoutCastENS8_16StoreWithoutCastELi4ELi1EEEEEvT0_T1_.num_named_barrier, 0
	.set .L_ZN2at6native25elementwise_kernel_helperILb0EZZZNS0_12_GLOBAL__N_121bessel_y1_kernel_cudaERNS_18TensorIteratorBaseEENKUlvE_clEvENKUlvE0_clEvEUlfE_NS0_6memory8policies11unroll_baseILi256ESt5arrayIPcLm2EE23TrivialOffsetCalculatorILi1EjESF_NS8_15LoadWithoutCastENS8_16StoreWithoutCastELi4ELi1EEEEEvT0_T1_.private_seg_size, 0
	.set .L_ZN2at6native25elementwise_kernel_helperILb0EZZZNS0_12_GLOBAL__N_121bessel_y1_kernel_cudaERNS_18TensorIteratorBaseEENKUlvE_clEvENKUlvE0_clEvEUlfE_NS0_6memory8policies11unroll_baseILi256ESt5arrayIPcLm2EE23TrivialOffsetCalculatorILi1EjESF_NS8_15LoadWithoutCastENS8_16StoreWithoutCastELi4ELi1EEEEEvT0_T1_.uses_vcc, 1
	.set .L_ZN2at6native25elementwise_kernel_helperILb0EZZZNS0_12_GLOBAL__N_121bessel_y1_kernel_cudaERNS_18TensorIteratorBaseEENKUlvE_clEvENKUlvE0_clEvEUlfE_NS0_6memory8policies11unroll_baseILi256ESt5arrayIPcLm2EE23TrivialOffsetCalculatorILi1EjESF_NS8_15LoadWithoutCastENS8_16StoreWithoutCastELi4ELi1EEEEEvT0_T1_.uses_flat_scratch, 0
	.set .L_ZN2at6native25elementwise_kernel_helperILb0EZZZNS0_12_GLOBAL__N_121bessel_y1_kernel_cudaERNS_18TensorIteratorBaseEENKUlvE_clEvENKUlvE0_clEvEUlfE_NS0_6memory8policies11unroll_baseILi256ESt5arrayIPcLm2EE23TrivialOffsetCalculatorILi1EjESF_NS8_15LoadWithoutCastENS8_16StoreWithoutCastELi4ELi1EEEEEvT0_T1_.has_dyn_sized_stack, 0
	.set .L_ZN2at6native25elementwise_kernel_helperILb0EZZZNS0_12_GLOBAL__N_121bessel_y1_kernel_cudaERNS_18TensorIteratorBaseEENKUlvE_clEvENKUlvE0_clEvEUlfE_NS0_6memory8policies11unroll_baseILi256ESt5arrayIPcLm2EE23TrivialOffsetCalculatorILi1EjESF_NS8_15LoadWithoutCastENS8_16StoreWithoutCastELi4ELi1EEEEEvT0_T1_.has_recursion, 0
	.set .L_ZN2at6native25elementwise_kernel_helperILb0EZZZNS0_12_GLOBAL__N_121bessel_y1_kernel_cudaERNS_18TensorIteratorBaseEENKUlvE_clEvENKUlvE0_clEvEUlfE_NS0_6memory8policies11unroll_baseILi256ESt5arrayIPcLm2EE23TrivialOffsetCalculatorILi1EjESF_NS8_15LoadWithoutCastENS8_16StoreWithoutCastELi4ELi1EEEEEvT0_T1_.has_indirect_call, 0
	.section	.AMDGPU.csdata,"",@progbits
; Function info:
; codeLenInByte = 12324
; TotalNumSgprs: 34
; NumVgprs: 40
; ScratchSize: 0
; MemoryBound: 0
	.text
	.p2align	2                               ; -- Begin function _ZN2at6native25elementwise_kernel_helperILb0EZZZNS0_12_GLOBAL__N_121bessel_y1_kernel_cudaERNS_18TensorIteratorBaseEENKUlvE_clEvENKUlvE0_clEvEUlfE_NS0_6memory8policies10vectorizedILi4ESt5arrayIPcLm2EELi4EEEEEvT0_T1_
	.type	_ZN2at6native25elementwise_kernel_helperILb0EZZZNS0_12_GLOBAL__N_121bessel_y1_kernel_cudaERNS_18TensorIteratorBaseEENKUlvE_clEvENKUlvE0_clEvEUlfE_NS0_6memory8policies10vectorizedILi4ESt5arrayIPcLm2EELi4EEEEEvT0_T1_,@function
_ZN2at6native25elementwise_kernel_helperILb0EZZZNS0_12_GLOBAL__N_121bessel_y1_kernel_cudaERNS_18TensorIteratorBaseEENKUlvE_clEvENKUlvE0_clEvEUlfE_NS0_6memory8policies10vectorizedILi4ESt5arrayIPcLm2EELi4EEEEEvT0_T1_: ; @_ZN2at6native25elementwise_kernel_helperILb0EZZZNS0_12_GLOBAL__N_121bessel_y1_kernel_cudaERNS_18TensorIteratorBaseEENKUlvE_clEvENKUlvE0_clEvEUlfE_NS0_6memory8policies10vectorizedILi4ESt5arrayIPcLm2EELi4EEEEEvT0_T1_
; %bb.0:
	s_waitcnt vmcnt(0) expcnt(0) lgkmcnt(0)
	s_lshl_b32 s4, s12, 10
	v_and_b32_e32 v4, 0x3ff, v31
	s_ashr_i32 s5, s4, 31
                                        ; implicit-def: $vgpr6
	s_lshl_b64 s[8:9], s[4:5], 2
	s_mov_b32 s4, exec_lo
	v_lshlrev_b32_e32 v10, 4, v4
	v_add_co_u32 v2, vcc_lo, v2, s8
	v_add_co_ci_u32_e64 v3, null, s9, v3, vcc_lo
	v_add_co_u32 v2, vcc_lo, v2, v10
	v_add_co_ci_u32_e64 v3, null, 0, v3, vcc_lo
	flat_load_dwordx4 v[2:5], v[2:3]
	s_waitcnt vmcnt(0) lgkmcnt(0)
	v_cmpx_ge_f32_e32 0x40a00000, v2
	s_xor_b32 s7, exec_lo, s4
	s_cbranch_execz .LBB13_6
; %bb.1:
	v_mov_b32_e32 v6, 0xff800000
	s_mov_b32 s10, exec_lo
	v_cmpx_neq_f32_e32 0, v2
	s_cbranch_execz .LBB13_5
; %bb.2:
	v_mov_b32_e32 v6, 0x7fc00000
	s_mov_b32 s11, exec_lo
	v_cmpx_nge_f32_e32 0, v2
	s_cbranch_execz .LBB13_4
; %bb.3:
	v_mul_f32_e32 v6, v2, v2
	v_cmp_gt_f32_e64 s4, 0x800000, v2
	v_div_scale_f32 v16, null, v2, v2, -1.0
	v_div_scale_f32 v25, s6, -1.0, v2, -1.0
	v_fmaak_f32 v7, 0, v6, 0x4414934d
	v_fmaak_f32 v8, 0, v6, 0x441b3589
	;; [unrolled: 1-line block ×4, first 2 shown]
	v_cndmask_b32_e64 v15, 0, 32, s4
	v_fmaak_f32 v7, v6, v7, 0x48660b06
	v_fmaak_f32 v8, v6, v8, 0x487af6d0
	;; [unrolled: 1-line block ×4, first 2 shown]
	v_rcp_f32_e32 v17, v16
	v_fmaak_f32 v7, v6, v7, 0x4c8c277d
	v_fmaak_f32 v8, v6, v8, 0x4c9f4aa7
	;; [unrolled: 1-line block ×4, first 2 shown]
	v_ldexp_f32 v15, v2, v15
	v_fmaak_f32 v7, v6, v7, 0x508bc61d
	v_fmaak_f32 v8, v6, v8, 0x50a509fc
	;; [unrolled: 1-line block ×4, first 2 shown]
	v_log_f32_e32 v15, v15
	v_fmaak_f32 v7, v6, v7, 0x5461faf8
	v_fmaak_f32 v8, v6, v8, 0x548a37dc
	v_fmaak_f32 v9, v6, v9, 0x5c33cd68
	v_fma_f32 v22, -v16, v17, 1.0
	v_fmaak_f32 v7, v6, v7, 0x580d1937
	v_fmaak_f32 v8, v6, v8, 0x58325852
	;; [unrolled: 1-line block ×3, first 2 shown]
	v_fmac_f32_e32 v17, v22, v17
	v_mul_f32_e32 v26, 0x3f317217, v15
	v_fmaak_f32 v7, v6, v7, 0x5b741f1e
	v_fmaak_f32 v8, v6, v8, 0x5b9f0600
	v_fma_f32 v22, 0x3f317217, v15, -v26
	v_fmaak_f32 v7, v6, v7, 0x5e5c878d
	v_fmaak_f32 v6, v6, v8, 0x5e93bcac
	v_div_scale_f32 v8, null, v7, v7, v9
	v_div_scale_f32 v12, null, v6, v6, v11
	v_div_scale_f32 v20, vcc_lo, v9, v7, v9
	v_rcp_f32_e32 v13, v8
	v_rcp_f32_e32 v14, v12
	v_div_scale_f32 v21, s5, v11, v6, v11
	v_fma_f32 v18, -v8, v13, 1.0
	v_fma_f32 v19, -v12, v14, 1.0
	v_fmac_f32_e32 v13, v18, v13
	v_fmac_f32_e32 v14, v19, v14
	v_mul_f32_e32 v18, v20, v13
	v_mul_f32_e32 v19, v21, v14
	v_fma_f32 v23, -v8, v18, v20
	v_fma_f32 v24, -v12, v19, v21
	v_fmac_f32_e32 v18, v23, v13
	v_fmac_f32_e32 v19, v24, v14
	v_fma_f32 v8, -v8, v18, v20
	v_mul_f32_e32 v20, v25, v17
	v_fma_f32 v12, -v12, v19, v21
	v_div_fmas_f32 v8, v8, v13, v18
	s_mov_b32 vcc_lo, s5
	v_fma_f32 v13, -v16, v20, v25
	v_div_fmas_f32 v12, v12, v14, v19
	v_fmamk_f32 v14, v15, 0x3377d1cf, v22
	v_cmp_gt_f32_e64 vcc_lo, 0x7f800000, |v15|
	v_div_fixup_f32 v7, v8, v7, v9
	v_fmac_f32_e32 v20, v13, v17
	v_div_fixup_f32 v6, v12, v6, v11
	v_fmac_f32_e32 v14, 0x3f317217, v15
	v_fmaak_f32 v11, v2, v2, 0xc16ae95a
	v_fmaak_f32 v12, v2, v2, 0xc244dfb3
	v_fma_f32 v16, -v16, v20, v25
	v_mul_f32_e32 v6, v2, v6
	v_cndmask_b32_e32 v14, v15, v14, vcc_lo
	s_mov_b32 vcc_lo, s6
	v_cndmask_b32_e64 v13, 0, 0x41b17218, s4
	v_mul_f32_e32 v6, v11, v6
	v_div_fmas_f32 v11, v16, v17, v20
	v_sub_f32_e32 v13, v14, v13
	v_mul_f32_e32 v6, v12, v6
	v_div_fixup_f32 v11, v11, v2, -1.0
	v_fmac_f32_e32 v11, v13, v6
	v_mul_f32_e32 v6, 0x3f22f983, v11
	v_fmac_f32_e32 v6, v2, v7
.LBB13_4:
	s_or_b32 exec_lo, exec_lo, s11
.LBB13_5:
	s_or_b32 exec_lo, exec_lo, s10
.LBB13_6:
	s_andn2_saveexec_b32 s7, s7
	s_cbranch_execz .LBB13_16
; %bb.7:
	v_add_f32_e32 v6, 0xc016cbe4, v2
                                        ; implicit-def: $vgpr9
                                        ; implicit-def: $vgpr8
	v_and_b32_e32 v7, 0x7fffffff, v6
	v_cmp_ngt_f32_e64 s6, 0x48000000, |v6|
	v_lshrrev_b32_e32 v12, 23, v7
	s_and_saveexec_b32 s4, s6
	s_xor_b32 s10, exec_lo, s4
	s_cbranch_execz .LBB13_9
; %bb.8:
	s_mov_b32 s4, 0x7fffff
	v_mov_b32_e32 v14, 0
	v_and_or_b32 v11, v7, s4, 0x800000
	v_mad_u64_u32 v[8:9], null, 0xfe5163ab, v11, 0
	v_mov_b32_e32 v13, v9
	v_add_nc_u32_e32 v9, 0xffffff88, v12
	v_mad_u64_u32 v[15:16], null, 0x3c439041, v11, v[13:14]
	v_cmp_lt_u32_e32 vcc_lo, 63, v9
	v_cndmask_b32_e64 v20, 0, 0xffffffc0, vcc_lo
	v_mov_b32_e32 v13, v16
	v_add_nc_u32_e32 v9, v20, v9
	v_mad_u64_u32 v[16:17], null, 0xdb629599, v11, v[13:14]
	v_cmp_lt_u32_e64 s4, 31, v9
	v_mov_b32_e32 v13, v17
	v_cndmask_b32_e64 v21, 0, 0xffffffe0, s4
	v_cndmask_b32_e32 v8, v16, v8, vcc_lo
	v_mad_u64_u32 v[17:18], null, 0xf534ddc0, v11, v[13:14]
	v_add_nc_u32_e32 v9, v21, v9
	v_cmp_lt_u32_e64 s5, 31, v9
	v_mov_b32_e32 v13, v18
	v_mad_u64_u32 v[18:19], null, 0xfc2757d1, v11, v[13:14]
	v_mov_b32_e32 v13, v19
	v_mad_u64_u32 v[19:20], null, 0x4e441529, v11, v[13:14]
	v_mov_b32_e32 v13, v20
	v_cndmask_b32_e32 v20, v19, v17, vcc_lo
	v_mad_u64_u32 v[13:14], null, 0xa2f9836e, v11, v[13:14]
	v_cndmask_b32_e64 v11, 0, 0xffffffe0, s5
	v_add_nc_u32_e32 v9, v11, v9
	v_cndmask_b32_e32 v13, v13, v18, vcc_lo
	v_cndmask_b32_e32 v14, v14, v19, vcc_lo
	v_cndmask_b32_e32 v18, v18, v16, vcc_lo
	v_cndmask_b32_e32 v11, v17, v15, vcc_lo
	v_sub_nc_u32_e32 v17, 32, v9
	v_cndmask_b32_e64 v15, v13, v20, s4
	v_cndmask_b32_e64 v13, v14, v13, s4
	;; [unrolled: 1-line block ×4, first 2 shown]
	v_cmp_eq_u32_e32 vcc_lo, 0, v9
	v_cndmask_b32_e64 v8, v11, v8, s4
	v_cndmask_b32_e64 v13, v13, v15, s5
	;; [unrolled: 1-line block ×5, first 2 shown]
	v_alignbit_b32 v19, v13, v15, v17
	v_alignbit_b32 v16, v15, v14, v17
	;; [unrolled: 1-line block ×3, first 2 shown]
	v_cndmask_b32_e32 v9, v19, v13, vcc_lo
	v_cndmask_b32_e32 v11, v16, v15, vcc_lo
	v_cndmask_b32_e32 v14, v17, v14, vcc_lo
	v_bfe_u32 v13, v9, 29, 1
	v_alignbit_b32 v15, v9, v11, 30
	v_alignbit_b32 v11, v11, v14, 30
	;; [unrolled: 1-line block ×3, first 2 shown]
	v_sub_nc_u32_e32 v16, 0, v13
	v_xor_b32_e32 v15, v15, v16
	v_xor_b32_e32 v11, v11, v16
	;; [unrolled: 1-line block ×3, first 2 shown]
	v_lshrrev_b32_e32 v16, 29, v9
	v_lshrrev_b32_e32 v9, 30, v9
	v_ffbh_u32_e32 v17, v15
	v_add_nc_u32_e32 v9, v13, v9
	v_min_u32_e32 v17, 32, v17
	v_sub_nc_u32_e32 v14, 31, v17
	v_lshlrev_b32_e32 v18, 23, v17
	v_alignbit_b32 v15, v15, v11, v14
	v_alignbit_b32 v8, v11, v8, v14
	v_lshlrev_b32_e32 v11, 31, v16
	v_alignbit_b32 v14, v15, v8, 9
	v_or_b32_e32 v16, 0.5, v11
	v_lshrrev_b32_e32 v15, 9, v15
	v_or_b32_e32 v11, 0x33000000, v11
	v_ffbh_u32_e32 v19, v14
	v_sub_nc_u32_e32 v16, v16, v18
	v_min_u32_e32 v18, 32, v19
	v_or_b32_e32 v15, v15, v16
	v_not_b32_e32 v16, v18
	v_mul_f32_e32 v19, 0x3fc90fda, v15
	v_add_lshl_u32 v17, v18, v17, 23
	v_alignbit_b32 v8, v14, v8, v16
	v_fma_f32 v14, 0x3fc90fda, v15, -v19
	v_sub_nc_u32_e32 v11, v11, v17
	v_lshrrev_b32_e32 v8, 9, v8
	v_fmamk_f32 v14, v15, 0x33a22168, v14
	v_or_b32_e32 v8, v11, v8
	v_fmac_f32_e32 v14, 0x3fc90fda, v8
	v_add_f32_e32 v8, v19, v14
	s_or_saveexec_b32 s4, s10
	v_mul_f32_e64 v14, 0x3f22f983, |v6|
	s_xor_b32 exec_lo, exec_lo, s4
	s_branch .LBB13_10
.LBB13_9:
	s_or_saveexec_b32 s4, s10
	v_mul_f32_e64 v14, 0x3f22f983, |v6|
	s_xor_b32 exec_lo, exec_lo, s4
.LBB13_10:
	v_rndne_f32_e32 v9, v14
	v_fma_f32 v8, 0xbfc90fda, v9, |v6|
	v_fmamk_f32 v8, v9, 0xb3a22168, v8
	v_fmamk_f32 v8, v9, 0xa7c234c4, v8
	v_cvt_i32_f32_e32 v9, v9
; %bb.11:
	s_or_b32 exec_lo, exec_lo, s4
                                        ; implicit-def: $vgpr13
                                        ; implicit-def: $vgpr11
	s_and_saveexec_b32 s4, s6
	s_xor_b32 s6, exec_lo, s4
	s_cbranch_execz .LBB13_13
; %bb.12:
	s_mov_b32 s4, 0x7fffff
	v_mov_b32_e32 v15, 0
	v_and_or_b32 v21, v7, s4, 0x800000
	v_mad_u64_u32 v[13:14], null, 0xfe5163ab, v21, 0
	v_mad_u64_u32 v[16:17], null, 0x3c439041, v21, v[14:15]
	v_mov_b32_e32 v14, v17
	v_mad_u64_u32 v[17:18], null, 0xdb629599, v21, v[14:15]
	v_mov_b32_e32 v14, v18
	;; [unrolled: 2-line block ×3, first 2 shown]
	v_add_nc_u32_e32 v19, 0xffffff88, v12
	v_mad_u64_u32 v[11:12], null, 0xfc2757d1, v21, v[14:15]
	v_cmp_lt_u32_e32 vcc_lo, 63, v19
	v_cndmask_b32_e64 v20, 0, 0xffffffc0, vcc_lo
	v_mov_b32_e32 v14, v12
	v_cndmask_b32_e32 v16, v18, v16, vcc_lo
	v_cndmask_b32_e32 v13, v17, v13, vcc_lo
	v_add_nc_u32_e32 v12, v20, v19
	v_mad_u64_u32 v[19:20], null, 0x4e441529, v21, v[14:15]
	v_cmp_lt_u32_e64 s4, 31, v12
	v_mov_b32_e32 v14, v20
	v_cndmask_b32_e64 v22, 0, 0xffffffe0, s4
	v_cndmask_b32_e64 v13, v16, v13, s4
	v_mad_u64_u32 v[14:15], null, 0xa2f9836e, v21, v[14:15]
	v_add_nc_u32_e32 v12, v22, v12
	v_cndmask_b32_e32 v21, v19, v18, vcc_lo
	v_cmp_lt_u32_e64 s5, 31, v12
	v_cndmask_b32_e32 v14, v14, v11, vcc_lo
	v_cndmask_b32_e32 v15, v15, v19, vcc_lo
	;; [unrolled: 1-line block ×3, first 2 shown]
	v_cndmask_b32_e64 v20, 0, 0xffffffe0, s5
	v_cndmask_b32_e64 v18, v14, v21, s4
	;; [unrolled: 1-line block ×5, first 2 shown]
	v_add_nc_u32_e32 v12, v20, v12
	v_cndmask_b32_e64 v14, v14, v18, s5
	v_cndmask_b32_e64 v18, v18, v15, s5
	;; [unrolled: 1-line block ×3, first 2 shown]
	v_sub_nc_u32_e32 v19, 32, v12
	v_cmp_eq_u32_e32 vcc_lo, 0, v12
	v_cndmask_b32_e64 v11, v11, v13, s5
	v_alignbit_b32 v20, v14, v18, v19
	v_alignbit_b32 v17, v18, v15, v19
	v_cndmask_b32_e32 v12, v20, v14, vcc_lo
	v_cndmask_b32_e32 v14, v17, v18, vcc_lo
	v_alignbit_b32 v18, v15, v11, v19
	v_bfe_u32 v16, v12, 29, 1
	v_alignbit_b32 v13, v12, v14, 30
	v_cndmask_b32_e32 v15, v18, v15, vcc_lo
	v_sub_nc_u32_e32 v17, 0, v16
	v_alignbit_b32 v14, v14, v15, 30
	v_alignbit_b32 v11, v15, v11, 30
	v_xor_b32_e32 v13, v13, v17
	v_xor_b32_e32 v14, v14, v17
	;; [unrolled: 1-line block ×3, first 2 shown]
	v_lshrrev_b32_e32 v17, 29, v12
	v_ffbh_u32_e32 v18, v13
	v_lshrrev_b32_e32 v12, 30, v12
	v_min_u32_e32 v18, 32, v18
	v_sub_nc_u32_e32 v15, 31, v18
	v_lshlrev_b32_e32 v19, 23, v18
	v_alignbit_b32 v13, v13, v14, v15
	v_alignbit_b32 v11, v14, v11, v15
	v_lshlrev_b32_e32 v14, 31, v17
	v_alignbit_b32 v15, v13, v11, 9
	v_or_b32_e32 v17, 0.5, v14
	v_lshrrev_b32_e32 v13, 9, v13
	v_or_b32_e32 v14, 0x33000000, v14
	v_ffbh_u32_e32 v20, v15
	v_sub_nc_u32_e32 v17, v17, v19
	v_min_u32_e32 v19, 32, v20
	v_or_b32_e32 v13, v13, v17
	v_not_b32_e32 v17, v19
	v_mul_f32_e32 v20, 0x3fc90fda, v13
	v_add_lshl_u32 v18, v19, v18, 23
	v_alignbit_b32 v11, v15, v11, v17
	v_fma_f32 v15, 0x3fc90fda, v13, -v20
	v_sub_nc_u32_e32 v14, v14, v18
	v_lshrrev_b32_e32 v11, 9, v11
	v_fmamk_f32 v13, v13, 0x33a22168, v15
	v_or_b32_e32 v11, v14, v11
                                        ; implicit-def: $vgpr14
	v_fmac_f32_e32 v13, 0x3fc90fda, v11
	v_add_f32_e32 v11, v20, v13
	v_add_nc_u32_e32 v13, v16, v12
	s_andn2_saveexec_b32 s4, s6
	s_cbranch_execnz .LBB13_14
	s_branch .LBB13_15
.LBB13_13:
	s_andn2_saveexec_b32 s4, s6
.LBB13_14:
	v_rndne_f32_e32 v12, v14
	v_fma_f32 v11, 0xbfc90fda, v12, |v6|
	v_cvt_i32_f32_e32 v13, v12
	v_fmamk_f32 v11, v12, 0xb3a22168, v11
	v_fmamk_f32 v11, v12, 0xa7c234c4, v11
.LBB13_15:
	s_or_b32 exec_lo, exec_lo, s4
	v_div_scale_f32 v12, null, v2, v2, 0x40a00000
	v_div_scale_f32 v16, vcc_lo, 0x40a00000, v2, 0x40a00000
	s_mov_b32 s4, 0xb94c1982
	v_rcp_f32_e32 v14, v12
	v_mul_f32_e32 v23, 0x4f800000, v2
	s_mov_b32 s5, 0x37d75334
	v_and_b32_e32 v18, 1, v13
	v_xor_b32_e32 v7, v7, v6
	v_lshlrev_b32_e32 v13, 30, v13
	v_and_b32_e32 v13, 0x80000000, v13
	v_fma_f32 v15, -v12, v14, 1.0
	v_fmac_f32_e32 v14, v15, v14
	v_mul_f32_e32 v15, v16, v14
	v_fma_f32 v17, -v12, v15, v16
	v_fmac_f32_e32 v15, v17, v14
	v_mul_f32_e32 v17, v11, v11
	v_fma_f32 v12, -v12, v15, v16
	v_fmaak_f32 v26, s4, v17, 0x3c0881c4
	v_fmaak_f32 v27, s5, v17, 0xbab64f3b
	v_div_fmas_f32 v12, v12, v14, v15
	v_mul_f32_e32 v14, v8, v8
	v_fmaak_f32 v27, v17, v27, 0x3d2aabf7
	v_and_b32_e32 v15, 1, v9
	v_fmaak_f32 v26, v17, v26, 0xbe2aaa9d
	v_div_fixup_f32 v12, v12, v2, 0x40a00000
	v_fmaak_f32 v24, s4, v14, 0x3c0881c4
	v_cmp_gt_f32_e64 s4, 0xf800000, v2
	v_fmaak_f32 v25, s5, v14, 0xbab64f3b
	v_fmaak_f32 v27, v17, v27, 0xbf000004
	v_mul_f32_e32 v16, v12, v12
	v_fmaak_f32 v24, v14, v24, 0xbe2aaa9d
	v_cndmask_b32_e64 v2, v2, v23, s4
	v_fmaak_f32 v25, v14, v25, 0x3d2aabf7
	v_mul_f32_e32 v26, v17, v26
	v_fmaak_f32 v19, 0, v16, 0x3d513fd3
	v_fmaak_f32 v20, 0, v16, 0x3a15c4d9
	;; [unrolled: 1-line block ×4, first 2 shown]
	v_mul_f32_e32 v24, v14, v24
	v_fmaak_f32 v19, v16, v19, 0x409f6dae
	v_fmaak_f32 v20, v16, v20, 0x3d8cfeeb
	;; [unrolled: 1-line block ×9, first 2 shown]
	v_fmac_f32_e32 v8, v8, v24
	v_fmaak_f32 v19, v16, v19, 0x43b763ca
	v_fmaak_f32 v20, v16, v20, 0x40a25d18
	;; [unrolled: 1-line block ×4, first 2 shown]
	v_sqrt_f32_e32 v30, v2
	v_fmaak_f32 v19, v16, v19, 0x4431b6ce
	v_fmaak_f32 v20, v16, v20, 0x410665cf
	;; [unrolled: 1-line block ×4, first 2 shown]
	v_fma_f32 v14, v14, v25, 1.0
	v_fmaak_f32 v19, v16, v19, 0x44155f56
	v_fmaak_f32 v20, v16, v20, 0x40a6b6ea
	;; [unrolled: 1-line block ×4, first 2 shown]
	v_fma_f32 v17, v17, v27, 1.0
	v_fmaak_f32 v19, v16, v19, 0x4353b052
	v_fma_f32 v20, v16, v20, 1.0
	v_fma_f32 v21, v16, v21, 1.0
	v_fmaak_f32 v22, v16, v22, 0x43a80bfb
	v_cmp_eq_u32_e64 s6, 0, v15
	v_fmaak_f32 v16, v16, v19, 0x41c9a7fa
	v_lshlrev_b32_e32 v9, 30, v9
	v_div_scale_f32 v19, null, v20, v20, v21
	v_div_scale_f32 v33, vcc_lo, v21, v20, v21
	v_div_scale_f32 v28, null, v22, v22, v16
	v_rcp_f32_e32 v23, v19
	v_fmac_f32_e32 v11, v11, v26
	v_cndmask_b32_e64 v8, v14, v8, s6
	v_rcp_f32_e32 v29, v28
	v_cmp_eq_u32_e64 s6, 0, v18
	v_and_b32_e32 v9, 0x80000000, v9
	v_add_nc_u32_e32 v26, -1, v30
	v_cndmask_b32_e64 v11, -v11, v17, s6
	v_fma_f32 v31, -v19, v23, 1.0
	v_fma_f32 v14, -v26, v30, v2
	v_xor3_b32 v7, v7, v9, v8
	v_fma_f32 v32, -v28, v29, 1.0
	v_xor_b32_e32 v11, v13, v11
	v_fmac_f32_e32 v23, v31, v23
	v_div_scale_f32 v31, s5, v16, v22, v16
	v_fmac_f32_e32 v29, v32, v29
	v_add_nc_u32_e32 v32, 1, v30
	v_mul_f32_e32 v24, v33, v23
	v_mul_f32_e32 v25, v31, v29
	v_fma_f32 v15, -v32, v30, v2
	v_fma_f32 v27, -v19, v24, v33
	;; [unrolled: 1-line block ×3, first 2 shown]
	v_fmac_f32_e32 v24, v27, v23
	v_fmac_f32_e32 v25, v34, v29
	v_fma_f32 v17, -v19, v24, v33
	v_fma_f32 v8, -v28, v25, v31
	v_div_fmas_f32 v9, v17, v23, v24
	s_mov_b32 vcc_lo, s5
	v_cmp_ge_f32_e64 s5, 0, v14
	v_div_fmas_f32 v8, v8, v29, v25
	v_cmp_class_f32_e64 vcc_lo, v6, 0x1f8
	v_div_fixup_f32 v9, v9, v20, v21
	v_cndmask_b32_e64 v6, v30, v26, s5
	v_div_fixup_f32 v8, v8, v22, v16
	v_cmp_lt_f32_e64 s5, 0, v15
	v_cndmask_b32_e32 v11, 0x7fc00000, v11, vcc_lo
	v_cndmask_b32_e32 v7, 0x7fc00000, v7, vcc_lo
	v_cmp_class_f32_e64 vcc_lo, v2, 0x260
	v_mul_f32_e32 v8, v12, v8
	v_cndmask_b32_e64 v6, v6, v32, s5
	v_mul_f32_e32 v8, v8, v11
	v_mul_f32_e32 v12, 0x37800000, v6
	v_fmac_f32_e32 v8, v9, v7
	v_cndmask_b32_e64 v6, v6, v12, s4
	v_cndmask_b32_e32 v2, v6, v2, vcc_lo
	v_mul_f32_e32 v6, 0x3f4c422a, v8
	v_div_scale_f32 v7, null, v2, v2, v6
	v_rcp_f32_e32 v8, v7
	v_fma_f32 v9, -v7, v8, 1.0
	v_fmac_f32_e32 v8, v9, v8
	v_div_scale_f32 v9, vcc_lo, v6, v2, v6
	v_mul_f32_e32 v11, v9, v8
	v_fma_f32 v12, -v7, v11, v9
	v_fmac_f32_e32 v11, v12, v8
	v_fma_f32 v7, -v7, v11, v9
	v_div_fmas_f32 v7, v7, v8, v11
	v_div_fixup_f32 v6, v7, v2, v6
.LBB13_16:
	s_or_b32 exec_lo, exec_lo, s7
	s_mov_b32 s4, exec_lo
	v_cmpx_ge_f32_e32 0x40a00000, v3
	s_xor_b32 s7, exec_lo, s4
	s_cbranch_execz .LBB13_22
; %bb.17:
	v_mov_b32_e32 v7, 0xff800000
	s_mov_b32 s10, exec_lo
	v_cmpx_neq_f32_e32 0, v3
	s_cbranch_execz .LBB13_21
; %bb.18:
	v_mov_b32_e32 v7, 0x7fc00000
	s_mov_b32 s11, exec_lo
	v_cmpx_nge_f32_e32 0, v3
	s_cbranch_execz .LBB13_20
; %bb.19:
	v_mul_f32_e32 v2, v3, v3
	v_cmp_gt_f32_e64 s4, 0x800000, v3
	v_div_scale_f32 v16, null, v3, v3, -1.0
	v_div_scale_f32 v25, s6, -1.0, v3, -1.0
	v_fmaak_f32 v7, 0, v2, 0x4414934d
	v_fmaak_f32 v8, 0, v2, 0x441b3589
	;; [unrolled: 1-line block ×4, first 2 shown]
	v_cndmask_b32_e64 v15, 0, 32, s4
	v_fmaak_f32 v7, v2, v7, 0x48660b06
	v_fmaak_f32 v8, v2, v8, 0x487af6d0
	;; [unrolled: 1-line block ×4, first 2 shown]
	v_rcp_f32_e32 v17, v16
	v_fmaak_f32 v7, v2, v7, 0x4c8c277d
	v_fmaak_f32 v8, v2, v8, 0x4c9f4aa7
	v_fmaak_f32 v9, v2, v9, 0x56d04aa6
	v_fmaak_f32 v11, v2, v11, 0xd6845497
	v_ldexp_f32 v15, v3, v15
	v_fmaak_f32 v7, v2, v7, 0x508bc61d
	v_fmaak_f32 v8, v2, v8, 0x50a509fc
	;; [unrolled: 1-line block ×4, first 2 shown]
	v_log_f32_e32 v15, v15
	v_fmaak_f32 v7, v2, v7, 0x5461faf8
	v_fmaak_f32 v8, v2, v8, 0x548a37dc
	;; [unrolled: 1-line block ×3, first 2 shown]
	v_fma_f32 v22, -v16, v17, 1.0
	v_fmaak_f32 v7, v2, v7, 0x580d1937
	v_fmaak_f32 v8, v2, v8, 0x58325852
	;; [unrolled: 1-line block ×3, first 2 shown]
	v_fmac_f32_e32 v17, v22, v17
	v_mul_f32_e32 v26, 0x3f317217, v15
	v_fmaak_f32 v7, v2, v7, 0x5b741f1e
	v_fmaak_f32 v8, v2, v8, 0x5b9f0600
	v_fma_f32 v22, 0x3f317217, v15, -v26
	v_fmaak_f32 v7, v2, v7, 0x5e5c878d
	v_fmaak_f32 v2, v2, v8, 0x5e93bcac
	v_div_scale_f32 v8, null, v7, v7, v9
	v_div_scale_f32 v12, null, v2, v2, v11
	v_div_scale_f32 v20, vcc_lo, v9, v7, v9
	v_rcp_f32_e32 v13, v8
	v_rcp_f32_e32 v14, v12
	v_div_scale_f32 v21, s5, v11, v2, v11
	v_fma_f32 v18, -v8, v13, 1.0
	v_fma_f32 v19, -v12, v14, 1.0
	v_fmac_f32_e32 v13, v18, v13
	v_fmac_f32_e32 v14, v19, v14
	v_mul_f32_e32 v18, v20, v13
	v_mul_f32_e32 v19, v21, v14
	v_fma_f32 v23, -v8, v18, v20
	v_fma_f32 v24, -v12, v19, v21
	v_fmac_f32_e32 v18, v23, v13
	v_fmac_f32_e32 v19, v24, v14
	v_fma_f32 v8, -v8, v18, v20
	v_mul_f32_e32 v20, v25, v17
	v_fma_f32 v12, -v12, v19, v21
	v_div_fmas_f32 v8, v8, v13, v18
	s_mov_b32 vcc_lo, s5
	v_fma_f32 v13, -v16, v20, v25
	v_div_fmas_f32 v12, v12, v14, v19
	v_fmamk_f32 v14, v15, 0x3377d1cf, v22
	v_cmp_gt_f32_e64 vcc_lo, 0x7f800000, |v15|
	v_fmac_f32_e32 v20, v13, v17
	v_div_fixup_f32 v2, v12, v2, v11
	v_fmac_f32_e32 v14, 0x3f317217, v15
	v_fmaak_f32 v11, v3, v3, 0xc16ae95a
	v_fmaak_f32 v12, v3, v3, 0xc244dfb3
	v_fma_f32 v16, -v16, v20, v25
	v_mul_f32_e32 v2, v3, v2
	v_cndmask_b32_e32 v14, v15, v14, vcc_lo
	s_mov_b32 vcc_lo, s6
	v_cndmask_b32_e64 v13, 0, 0x41b17218, s4
	v_mul_f32_e32 v2, v11, v2
	v_div_fmas_f32 v11, v16, v17, v20
	v_sub_f32_e32 v13, v14, v13
	v_mul_f32_e32 v2, v12, v2
	v_div_fixup_f32 v11, v11, v3, -1.0
	v_fmac_f32_e32 v11, v13, v2
	v_div_fixup_f32 v2, v8, v7, v9
	v_mul_f32_e32 v7, 0x3f22f983, v11
	v_fmac_f32_e32 v7, v3, v2
.LBB13_20:
	s_or_b32 exec_lo, exec_lo, s11
.LBB13_21:
	s_or_b32 exec_lo, exec_lo, s10
.LBB13_22:
	s_andn2_saveexec_b32 s7, s7
	s_cbranch_execz .LBB13_32
; %bb.23:
	v_add_f32_e32 v2, 0xc016cbe4, v3
                                        ; implicit-def: $vgpr9
                                        ; implicit-def: $vgpr8
	v_and_b32_e32 v7, 0x7fffffff, v2
	v_cmp_ngt_f32_e64 s6, 0x48000000, |v2|
	v_lshrrev_b32_e32 v12, 23, v7
	s_and_saveexec_b32 s4, s6
	s_xor_b32 s10, exec_lo, s4
	s_cbranch_execz .LBB13_25
; %bb.24:
	s_mov_b32 s4, 0x7fffff
	v_mov_b32_e32 v14, 0
	v_and_or_b32 v11, v7, s4, 0x800000
	v_mad_u64_u32 v[8:9], null, 0xfe5163ab, v11, 0
	v_mov_b32_e32 v13, v9
	v_add_nc_u32_e32 v9, 0xffffff88, v12
	v_mad_u64_u32 v[15:16], null, 0x3c439041, v11, v[13:14]
	v_cmp_lt_u32_e32 vcc_lo, 63, v9
	v_cndmask_b32_e64 v20, 0, 0xffffffc0, vcc_lo
	v_mov_b32_e32 v13, v16
	v_add_nc_u32_e32 v9, v20, v9
	v_mad_u64_u32 v[16:17], null, 0xdb629599, v11, v[13:14]
	v_cmp_lt_u32_e64 s4, 31, v9
	v_mov_b32_e32 v13, v17
	v_cndmask_b32_e64 v21, 0, 0xffffffe0, s4
	v_cndmask_b32_e32 v8, v16, v8, vcc_lo
	v_mad_u64_u32 v[17:18], null, 0xf534ddc0, v11, v[13:14]
	v_add_nc_u32_e32 v9, v21, v9
	v_cmp_lt_u32_e64 s5, 31, v9
	v_mov_b32_e32 v13, v18
	v_mad_u64_u32 v[18:19], null, 0xfc2757d1, v11, v[13:14]
	v_mov_b32_e32 v13, v19
	v_mad_u64_u32 v[19:20], null, 0x4e441529, v11, v[13:14]
	v_mov_b32_e32 v13, v20
	v_cndmask_b32_e32 v20, v19, v17, vcc_lo
	v_mad_u64_u32 v[13:14], null, 0xa2f9836e, v11, v[13:14]
	v_cndmask_b32_e64 v11, 0, 0xffffffe0, s5
	v_add_nc_u32_e32 v9, v11, v9
	v_cndmask_b32_e32 v13, v13, v18, vcc_lo
	v_cndmask_b32_e32 v14, v14, v19, vcc_lo
	;; [unrolled: 1-line block ×4, first 2 shown]
	v_sub_nc_u32_e32 v17, 32, v9
	v_cndmask_b32_e64 v15, v13, v20, s4
	v_cndmask_b32_e64 v13, v14, v13, s4
	;; [unrolled: 1-line block ×4, first 2 shown]
	v_cmp_eq_u32_e32 vcc_lo, 0, v9
	v_cndmask_b32_e64 v8, v11, v8, s4
	v_cndmask_b32_e64 v13, v13, v15, s5
	v_cndmask_b32_e64 v15, v15, v14, s5
	v_cndmask_b32_e64 v14, v14, v18, s5
	v_cndmask_b32_e64 v8, v18, v8, s5
	v_alignbit_b32 v19, v13, v15, v17
	v_alignbit_b32 v16, v15, v14, v17
	;; [unrolled: 1-line block ×3, first 2 shown]
	v_cndmask_b32_e32 v9, v19, v13, vcc_lo
	v_cndmask_b32_e32 v11, v16, v15, vcc_lo
	;; [unrolled: 1-line block ×3, first 2 shown]
	v_bfe_u32 v13, v9, 29, 1
	v_alignbit_b32 v15, v9, v11, 30
	v_alignbit_b32 v11, v11, v14, 30
	;; [unrolled: 1-line block ×3, first 2 shown]
	v_sub_nc_u32_e32 v16, 0, v13
	v_xor_b32_e32 v15, v15, v16
	v_xor_b32_e32 v11, v11, v16
	;; [unrolled: 1-line block ×3, first 2 shown]
	v_lshrrev_b32_e32 v16, 29, v9
	v_lshrrev_b32_e32 v9, 30, v9
	v_ffbh_u32_e32 v17, v15
	v_add_nc_u32_e32 v9, v13, v9
	v_min_u32_e32 v17, 32, v17
	v_sub_nc_u32_e32 v14, 31, v17
	v_lshlrev_b32_e32 v18, 23, v17
	v_alignbit_b32 v15, v15, v11, v14
	v_alignbit_b32 v8, v11, v8, v14
	v_lshlrev_b32_e32 v11, 31, v16
	v_alignbit_b32 v14, v15, v8, 9
	v_or_b32_e32 v16, 0.5, v11
	v_lshrrev_b32_e32 v15, 9, v15
	v_or_b32_e32 v11, 0x33000000, v11
	v_ffbh_u32_e32 v19, v14
	v_sub_nc_u32_e32 v16, v16, v18
	v_min_u32_e32 v18, 32, v19
	v_or_b32_e32 v15, v15, v16
	v_not_b32_e32 v16, v18
	v_mul_f32_e32 v19, 0x3fc90fda, v15
	v_add_lshl_u32 v17, v18, v17, 23
	v_alignbit_b32 v8, v14, v8, v16
	v_fma_f32 v14, 0x3fc90fda, v15, -v19
	v_sub_nc_u32_e32 v11, v11, v17
	v_lshrrev_b32_e32 v8, 9, v8
	v_fmamk_f32 v14, v15, 0x33a22168, v14
	v_or_b32_e32 v8, v11, v8
	v_fmac_f32_e32 v14, 0x3fc90fda, v8
	v_add_f32_e32 v8, v19, v14
	s_or_saveexec_b32 s4, s10
	v_mul_f32_e64 v14, 0x3f22f983, |v2|
	s_xor_b32 exec_lo, exec_lo, s4
	s_branch .LBB13_26
.LBB13_25:
	s_or_saveexec_b32 s4, s10
	v_mul_f32_e64 v14, 0x3f22f983, |v2|
	s_xor_b32 exec_lo, exec_lo, s4
.LBB13_26:
	v_rndne_f32_e32 v9, v14
	v_fma_f32 v8, 0xbfc90fda, v9, |v2|
	v_fmamk_f32 v8, v9, 0xb3a22168, v8
	v_fmamk_f32 v8, v9, 0xa7c234c4, v8
	v_cvt_i32_f32_e32 v9, v9
; %bb.27:
	s_or_b32 exec_lo, exec_lo, s4
                                        ; implicit-def: $vgpr13
                                        ; implicit-def: $vgpr11
	s_and_saveexec_b32 s4, s6
	s_xor_b32 s6, exec_lo, s4
	s_cbranch_execz .LBB13_29
; %bb.28:
	s_mov_b32 s4, 0x7fffff
	v_mov_b32_e32 v15, 0
	v_and_or_b32 v21, v7, s4, 0x800000
	v_mad_u64_u32 v[13:14], null, 0xfe5163ab, v21, 0
	v_mad_u64_u32 v[16:17], null, 0x3c439041, v21, v[14:15]
	v_mov_b32_e32 v14, v17
	v_mad_u64_u32 v[17:18], null, 0xdb629599, v21, v[14:15]
	v_mov_b32_e32 v14, v18
	;; [unrolled: 2-line block ×3, first 2 shown]
	v_add_nc_u32_e32 v19, 0xffffff88, v12
	v_mad_u64_u32 v[11:12], null, 0xfc2757d1, v21, v[14:15]
	v_cmp_lt_u32_e32 vcc_lo, 63, v19
	v_cndmask_b32_e64 v20, 0, 0xffffffc0, vcc_lo
	v_mov_b32_e32 v14, v12
	v_cndmask_b32_e32 v16, v18, v16, vcc_lo
	v_cndmask_b32_e32 v13, v17, v13, vcc_lo
	v_add_nc_u32_e32 v12, v20, v19
	v_mad_u64_u32 v[19:20], null, 0x4e441529, v21, v[14:15]
	v_cmp_lt_u32_e64 s4, 31, v12
	v_mov_b32_e32 v14, v20
	v_cndmask_b32_e64 v22, 0, 0xffffffe0, s4
	v_cndmask_b32_e64 v13, v16, v13, s4
	v_mad_u64_u32 v[14:15], null, 0xa2f9836e, v21, v[14:15]
	v_add_nc_u32_e32 v12, v22, v12
	v_cndmask_b32_e32 v21, v19, v18, vcc_lo
	v_cmp_lt_u32_e64 s5, 31, v12
	v_cndmask_b32_e32 v14, v14, v11, vcc_lo
	v_cndmask_b32_e32 v15, v15, v19, vcc_lo
	v_cndmask_b32_e32 v11, v11, v17, vcc_lo
	v_cndmask_b32_e64 v20, 0, 0xffffffe0, s5
	v_cndmask_b32_e64 v18, v14, v21, s4
	;; [unrolled: 1-line block ×5, first 2 shown]
	v_add_nc_u32_e32 v12, v20, v12
	v_cndmask_b32_e64 v14, v14, v18, s5
	v_cndmask_b32_e64 v18, v18, v15, s5
	v_cndmask_b32_e64 v15, v15, v11, s5
	v_sub_nc_u32_e32 v19, 32, v12
	v_cmp_eq_u32_e32 vcc_lo, 0, v12
	v_cndmask_b32_e64 v11, v11, v13, s5
	v_alignbit_b32 v20, v14, v18, v19
	v_alignbit_b32 v17, v18, v15, v19
	v_cndmask_b32_e32 v12, v20, v14, vcc_lo
	v_cndmask_b32_e32 v14, v17, v18, vcc_lo
	v_alignbit_b32 v18, v15, v11, v19
	v_bfe_u32 v16, v12, 29, 1
	v_alignbit_b32 v13, v12, v14, 30
	v_cndmask_b32_e32 v15, v18, v15, vcc_lo
	v_sub_nc_u32_e32 v17, 0, v16
	v_alignbit_b32 v14, v14, v15, 30
	v_alignbit_b32 v11, v15, v11, 30
	v_xor_b32_e32 v13, v13, v17
	v_xor_b32_e32 v14, v14, v17
	;; [unrolled: 1-line block ×3, first 2 shown]
	v_lshrrev_b32_e32 v17, 29, v12
	v_ffbh_u32_e32 v18, v13
	v_lshrrev_b32_e32 v12, 30, v12
	v_min_u32_e32 v18, 32, v18
	v_sub_nc_u32_e32 v15, 31, v18
	v_lshlrev_b32_e32 v19, 23, v18
	v_alignbit_b32 v13, v13, v14, v15
	v_alignbit_b32 v11, v14, v11, v15
	v_lshlrev_b32_e32 v14, 31, v17
	v_alignbit_b32 v15, v13, v11, 9
	v_or_b32_e32 v17, 0.5, v14
	v_lshrrev_b32_e32 v13, 9, v13
	v_or_b32_e32 v14, 0x33000000, v14
	v_ffbh_u32_e32 v20, v15
	v_sub_nc_u32_e32 v17, v17, v19
	v_min_u32_e32 v19, 32, v20
	v_or_b32_e32 v13, v13, v17
	v_not_b32_e32 v17, v19
	v_mul_f32_e32 v20, 0x3fc90fda, v13
	v_add_lshl_u32 v18, v19, v18, 23
	v_alignbit_b32 v11, v15, v11, v17
	v_fma_f32 v15, 0x3fc90fda, v13, -v20
	v_sub_nc_u32_e32 v14, v14, v18
	v_lshrrev_b32_e32 v11, 9, v11
	v_fmamk_f32 v13, v13, 0x33a22168, v15
	v_or_b32_e32 v11, v14, v11
                                        ; implicit-def: $vgpr14
	v_fmac_f32_e32 v13, 0x3fc90fda, v11
	v_add_f32_e32 v11, v20, v13
	v_add_nc_u32_e32 v13, v16, v12
	s_andn2_saveexec_b32 s4, s6
	s_cbranch_execnz .LBB13_30
	s_branch .LBB13_31
.LBB13_29:
	s_andn2_saveexec_b32 s4, s6
.LBB13_30:
	v_rndne_f32_e32 v12, v14
	v_fma_f32 v11, 0xbfc90fda, v12, |v2|
	v_cvt_i32_f32_e32 v13, v12
	v_fmamk_f32 v11, v12, 0xb3a22168, v11
	v_fmamk_f32 v11, v12, 0xa7c234c4, v11
.LBB13_31:
	s_or_b32 exec_lo, exec_lo, s4
	v_div_scale_f32 v12, null, v3, v3, 0x40a00000
	v_div_scale_f32 v16, vcc_lo, 0x40a00000, v3, 0x40a00000
	s_mov_b32 s4, 0xb94c1982
	v_rcp_f32_e32 v14, v12
	v_mul_f32_e32 v23, 0x4f800000, v3
	s_mov_b32 s5, 0x37d75334
	v_and_b32_e32 v18, 1, v13
	v_xor_b32_e32 v7, v7, v2
	v_lshlrev_b32_e32 v13, 30, v13
	v_and_b32_e32 v13, 0x80000000, v13
	v_fma_f32 v15, -v12, v14, 1.0
	v_fmac_f32_e32 v14, v15, v14
	v_mul_f32_e32 v15, v16, v14
	v_fma_f32 v17, -v12, v15, v16
	v_fmac_f32_e32 v15, v17, v14
	v_mul_f32_e32 v17, v11, v11
	v_fma_f32 v12, -v12, v15, v16
	v_fmaak_f32 v26, s4, v17, 0x3c0881c4
	v_fmaak_f32 v27, s5, v17, 0xbab64f3b
	v_div_fmas_f32 v12, v12, v14, v15
	v_mul_f32_e32 v14, v8, v8
	v_fmaak_f32 v27, v17, v27, 0x3d2aabf7
	v_and_b32_e32 v15, 1, v9
	v_fmaak_f32 v26, v17, v26, 0xbe2aaa9d
	v_div_fixup_f32 v12, v12, v3, 0x40a00000
	v_fmaak_f32 v24, s4, v14, 0x3c0881c4
	v_cmp_gt_f32_e64 s4, 0xf800000, v3
	v_fmaak_f32 v25, s5, v14, 0xbab64f3b
	v_fmaak_f32 v27, v17, v27, 0xbf000004
	v_mul_f32_e32 v16, v12, v12
	v_fmaak_f32 v24, v14, v24, 0xbe2aaa9d
	v_cndmask_b32_e64 v3, v3, v23, s4
	v_fmaak_f32 v25, v14, v25, 0x3d2aabf7
	v_mul_f32_e32 v26, v17, v26
	v_fmaak_f32 v19, 0, v16, 0x3d513fd3
	v_fmaak_f32 v20, 0, v16, 0x3a15c4d9
	;; [unrolled: 1-line block ×4, first 2 shown]
	v_mul_f32_e32 v24, v14, v24
	v_fmaak_f32 v19, v16, v19, 0x409f6dae
	v_fmaak_f32 v20, v16, v20, 0x3d8cfeeb
	;; [unrolled: 1-line block ×9, first 2 shown]
	v_fmac_f32_e32 v8, v8, v24
	v_fmaak_f32 v19, v16, v19, 0x43b763ca
	v_fmaak_f32 v20, v16, v20, 0x40a25d18
	;; [unrolled: 1-line block ×4, first 2 shown]
	v_sqrt_f32_e32 v30, v3
	v_fmaak_f32 v19, v16, v19, 0x4431b6ce
	v_fmaak_f32 v20, v16, v20, 0x410665cf
	;; [unrolled: 1-line block ×4, first 2 shown]
	v_fma_f32 v14, v14, v25, 1.0
	v_fmaak_f32 v19, v16, v19, 0x44155f56
	v_fmaak_f32 v20, v16, v20, 0x40a6b6ea
	;; [unrolled: 1-line block ×4, first 2 shown]
	v_fma_f32 v17, v17, v27, 1.0
	v_fmaak_f32 v19, v16, v19, 0x4353b052
	v_fma_f32 v20, v16, v20, 1.0
	v_fma_f32 v21, v16, v21, 1.0
	v_fmaak_f32 v22, v16, v22, 0x43a80bfb
	v_cmp_eq_u32_e64 s6, 0, v15
	v_fmaak_f32 v16, v16, v19, 0x41c9a7fa
	v_lshlrev_b32_e32 v9, 30, v9
	v_div_scale_f32 v19, null, v20, v20, v21
	v_div_scale_f32 v33, vcc_lo, v21, v20, v21
	v_div_scale_f32 v28, null, v22, v22, v16
	v_rcp_f32_e32 v23, v19
	v_fmac_f32_e32 v11, v11, v26
	v_cndmask_b32_e64 v8, v14, v8, s6
	v_rcp_f32_e32 v29, v28
	v_cmp_eq_u32_e64 s6, 0, v18
	v_and_b32_e32 v9, 0x80000000, v9
	v_add_nc_u32_e32 v26, -1, v30
	v_cndmask_b32_e64 v11, -v11, v17, s6
	v_fma_f32 v31, -v19, v23, 1.0
	v_fma_f32 v14, -v26, v30, v3
	v_xor3_b32 v7, v7, v9, v8
	v_fma_f32 v32, -v28, v29, 1.0
	v_xor_b32_e32 v11, v13, v11
	v_fmac_f32_e32 v23, v31, v23
	v_div_scale_f32 v31, s5, v16, v22, v16
	v_fmac_f32_e32 v29, v32, v29
	v_add_nc_u32_e32 v32, 1, v30
	v_mul_f32_e32 v24, v33, v23
	v_mul_f32_e32 v25, v31, v29
	v_fma_f32 v15, -v32, v30, v3
	v_fma_f32 v27, -v19, v24, v33
	;; [unrolled: 1-line block ×3, first 2 shown]
	v_fmac_f32_e32 v24, v27, v23
	v_fmac_f32_e32 v25, v34, v29
	v_fma_f32 v17, -v19, v24, v33
	v_fma_f32 v8, -v28, v25, v31
	v_div_fmas_f32 v9, v17, v23, v24
	s_mov_b32 vcc_lo, s5
	v_cmp_ge_f32_e64 s5, 0, v14
	v_div_fmas_f32 v8, v8, v29, v25
	v_cmp_class_f32_e64 vcc_lo, v2, 0x1f8
	v_div_fixup_f32 v9, v9, v20, v21
	v_cndmask_b32_e64 v2, v30, v26, s5
	v_div_fixup_f32 v8, v8, v22, v16
	v_cmp_lt_f32_e64 s5, 0, v15
	v_cndmask_b32_e32 v11, 0x7fc00000, v11, vcc_lo
	v_cndmask_b32_e32 v7, 0x7fc00000, v7, vcc_lo
	v_cmp_class_f32_e64 vcc_lo, v3, 0x260
	v_mul_f32_e32 v8, v12, v8
	v_cndmask_b32_e64 v2, v2, v32, s5
	v_mul_f32_e32 v8, v8, v11
	v_mul_f32_e32 v12, 0x37800000, v2
	v_fmac_f32_e32 v8, v9, v7
	v_cndmask_b32_e64 v2, v2, v12, s4
	v_cndmask_b32_e32 v2, v2, v3, vcc_lo
	v_mul_f32_e32 v3, 0x3f4c422a, v8
	v_div_scale_f32 v7, null, v2, v2, v3
	v_rcp_f32_e32 v8, v7
	v_fma_f32 v9, -v7, v8, 1.0
	v_fmac_f32_e32 v8, v9, v8
	v_div_scale_f32 v9, vcc_lo, v3, v2, v3
	v_mul_f32_e32 v11, v9, v8
	v_fma_f32 v12, -v7, v11, v9
	v_fmac_f32_e32 v11, v12, v8
	v_fma_f32 v7, -v7, v11, v9
	v_div_fmas_f32 v7, v7, v8, v11
	v_div_fixup_f32 v7, v7, v2, v3
.LBB13_32:
	s_or_b32 exec_lo, exec_lo, s7
	s_mov_b32 s4, exec_lo
	v_cmpx_ge_f32_e32 0x40a00000, v4
	s_xor_b32 s7, exec_lo, s4
	s_cbranch_execz .LBB13_38
; %bb.33:
	v_mov_b32_e32 v8, 0xff800000
	s_mov_b32 s10, exec_lo
	v_cmpx_neq_f32_e32 0, v4
	s_cbranch_execz .LBB13_37
; %bb.34:
	v_mov_b32_e32 v8, 0x7fc00000
	s_mov_b32 s11, exec_lo
	v_cmpx_nge_f32_e32 0, v4
	s_cbranch_execz .LBB13_36
; %bb.35:
	v_mul_f32_e32 v2, v4, v4
	v_cmp_gt_f32_e64 s4, 0x800000, v4
	v_div_scale_f32 v16, null, v4, v4, -1.0
	v_div_scale_f32 v25, s6, -1.0, v4, -1.0
	v_fmaak_f32 v3, 0, v2, 0x4414934d
	v_fmaak_f32 v8, 0, v2, 0x441b3589
	;; [unrolled: 1-line block ×4, first 2 shown]
	v_cndmask_b32_e64 v15, 0, 32, s4
	v_fmaak_f32 v3, v2, v3, 0x48660b06
	v_fmaak_f32 v8, v2, v8, 0x487af6d0
	;; [unrolled: 1-line block ×4, first 2 shown]
	v_rcp_f32_e32 v17, v16
	v_fmaak_f32 v3, v2, v3, 0x4c8c277d
	v_fmaak_f32 v8, v2, v8, 0x4c9f4aa7
	;; [unrolled: 1-line block ×4, first 2 shown]
	v_ldexp_f32 v15, v4, v15
	v_fmaak_f32 v3, v2, v3, 0x508bc61d
	v_fmaak_f32 v8, v2, v8, 0x50a509fc
	;; [unrolled: 1-line block ×4, first 2 shown]
	v_log_f32_e32 v15, v15
	v_fmaak_f32 v3, v2, v3, 0x5461faf8
	v_fmaak_f32 v8, v2, v8, 0x548a37dc
	;; [unrolled: 1-line block ×3, first 2 shown]
	v_fma_f32 v22, -v16, v17, 1.0
	v_fmaak_f32 v3, v2, v3, 0x580d1937
	v_fmaak_f32 v8, v2, v8, 0x58325852
	;; [unrolled: 1-line block ×3, first 2 shown]
	v_fmac_f32_e32 v17, v22, v17
	v_mul_f32_e32 v26, 0x3f317217, v15
	v_fmaak_f32 v3, v2, v3, 0x5b741f1e
	v_fmaak_f32 v8, v2, v8, 0x5b9f0600
	v_fma_f32 v22, 0x3f317217, v15, -v26
	v_fmaak_f32 v3, v2, v3, 0x5e5c878d
	v_fmaak_f32 v2, v2, v8, 0x5e93bcac
	v_div_scale_f32 v8, null, v3, v3, v9
	v_div_scale_f32 v12, null, v2, v2, v11
	v_div_scale_f32 v20, vcc_lo, v9, v3, v9
	v_rcp_f32_e32 v13, v8
	v_rcp_f32_e32 v14, v12
	v_div_scale_f32 v21, s5, v11, v2, v11
	v_fma_f32 v18, -v8, v13, 1.0
	v_fma_f32 v19, -v12, v14, 1.0
	v_fmac_f32_e32 v13, v18, v13
	v_fmac_f32_e32 v14, v19, v14
	v_mul_f32_e32 v18, v20, v13
	v_mul_f32_e32 v19, v21, v14
	v_fma_f32 v23, -v8, v18, v20
	v_fma_f32 v24, -v12, v19, v21
	v_fmac_f32_e32 v18, v23, v13
	v_fmac_f32_e32 v19, v24, v14
	v_fma_f32 v8, -v8, v18, v20
	v_mul_f32_e32 v20, v25, v17
	v_fma_f32 v12, -v12, v19, v21
	v_div_fmas_f32 v8, v8, v13, v18
	s_mov_b32 vcc_lo, s5
	v_fma_f32 v13, -v16, v20, v25
	v_div_fmas_f32 v12, v12, v14, v19
	v_fmamk_f32 v14, v15, 0x3377d1cf, v22
	v_cmp_gt_f32_e64 vcc_lo, 0x7f800000, |v15|
	v_fmac_f32_e32 v20, v13, v17
	v_div_fixup_f32 v2, v12, v2, v11
	v_fmac_f32_e32 v14, 0x3f317217, v15
	v_fmaak_f32 v11, v4, v4, 0xc16ae95a
	v_fmaak_f32 v12, v4, v4, 0xc244dfb3
	v_fma_f32 v16, -v16, v20, v25
	v_mul_f32_e32 v2, v4, v2
	v_cndmask_b32_e32 v14, v15, v14, vcc_lo
	s_mov_b32 vcc_lo, s6
	v_cndmask_b32_e64 v13, 0, 0x41b17218, s4
	v_mul_f32_e32 v2, v11, v2
	v_div_fmas_f32 v11, v16, v17, v20
	v_sub_f32_e32 v13, v14, v13
	v_mul_f32_e32 v2, v12, v2
	v_div_fixup_f32 v11, v11, v4, -1.0
	v_fmac_f32_e32 v11, v13, v2
	v_div_fixup_f32 v2, v8, v3, v9
	v_mul_f32_e32 v8, 0x3f22f983, v11
	v_fmac_f32_e32 v8, v4, v2
.LBB13_36:
	s_or_b32 exec_lo, exec_lo, s11
.LBB13_37:
	s_or_b32 exec_lo, exec_lo, s10
.LBB13_38:
	s_andn2_saveexec_b32 s7, s7
	s_cbranch_execz .LBB13_48
; %bb.39:
	v_add_f32_e32 v2, 0xc016cbe4, v4
                                        ; implicit-def: $vgpr9
                                        ; implicit-def: $vgpr8
	v_and_b32_e32 v3, 0x7fffffff, v2
	v_cmp_ngt_f32_e64 s6, 0x48000000, |v2|
	v_lshrrev_b32_e32 v12, 23, v3
	s_and_saveexec_b32 s4, s6
	s_xor_b32 s10, exec_lo, s4
	s_cbranch_execz .LBB13_41
; %bb.40:
	s_mov_b32 s4, 0x7fffff
	v_mov_b32_e32 v14, 0
	v_and_or_b32 v11, v3, s4, 0x800000
	v_mad_u64_u32 v[8:9], null, 0xfe5163ab, v11, 0
	v_mov_b32_e32 v13, v9
	v_add_nc_u32_e32 v9, 0xffffff88, v12
	v_mad_u64_u32 v[15:16], null, 0x3c439041, v11, v[13:14]
	v_cmp_lt_u32_e32 vcc_lo, 63, v9
	v_cndmask_b32_e64 v20, 0, 0xffffffc0, vcc_lo
	v_mov_b32_e32 v13, v16
	v_add_nc_u32_e32 v9, v20, v9
	v_mad_u64_u32 v[16:17], null, 0xdb629599, v11, v[13:14]
	v_cmp_lt_u32_e64 s4, 31, v9
	v_mov_b32_e32 v13, v17
	v_cndmask_b32_e64 v21, 0, 0xffffffe0, s4
	v_cndmask_b32_e32 v8, v16, v8, vcc_lo
	v_mad_u64_u32 v[17:18], null, 0xf534ddc0, v11, v[13:14]
	v_add_nc_u32_e32 v9, v21, v9
	v_cmp_lt_u32_e64 s5, 31, v9
	v_mov_b32_e32 v13, v18
	v_mad_u64_u32 v[18:19], null, 0xfc2757d1, v11, v[13:14]
	v_mov_b32_e32 v13, v19
	v_mad_u64_u32 v[19:20], null, 0x4e441529, v11, v[13:14]
	v_mov_b32_e32 v13, v20
	v_cndmask_b32_e32 v20, v19, v17, vcc_lo
	v_mad_u64_u32 v[13:14], null, 0xa2f9836e, v11, v[13:14]
	v_cndmask_b32_e64 v11, 0, 0xffffffe0, s5
	v_add_nc_u32_e32 v9, v11, v9
	v_cndmask_b32_e32 v13, v13, v18, vcc_lo
	v_cndmask_b32_e32 v14, v14, v19, vcc_lo
	;; [unrolled: 1-line block ×4, first 2 shown]
	v_sub_nc_u32_e32 v17, 32, v9
	v_cndmask_b32_e64 v15, v13, v20, s4
	v_cndmask_b32_e64 v13, v14, v13, s4
	;; [unrolled: 1-line block ×4, first 2 shown]
	v_cmp_eq_u32_e32 vcc_lo, 0, v9
	v_cndmask_b32_e64 v8, v11, v8, s4
	v_cndmask_b32_e64 v13, v13, v15, s5
	;; [unrolled: 1-line block ×5, first 2 shown]
	v_alignbit_b32 v19, v13, v15, v17
	v_alignbit_b32 v16, v15, v14, v17
	;; [unrolled: 1-line block ×3, first 2 shown]
	v_cndmask_b32_e32 v9, v19, v13, vcc_lo
	v_cndmask_b32_e32 v11, v16, v15, vcc_lo
	;; [unrolled: 1-line block ×3, first 2 shown]
	v_bfe_u32 v13, v9, 29, 1
	v_alignbit_b32 v15, v9, v11, 30
	v_alignbit_b32 v11, v11, v14, 30
	;; [unrolled: 1-line block ×3, first 2 shown]
	v_sub_nc_u32_e32 v16, 0, v13
	v_xor_b32_e32 v15, v15, v16
	v_xor_b32_e32 v11, v11, v16
	;; [unrolled: 1-line block ×3, first 2 shown]
	v_lshrrev_b32_e32 v16, 29, v9
	v_lshrrev_b32_e32 v9, 30, v9
	v_ffbh_u32_e32 v17, v15
	v_add_nc_u32_e32 v9, v13, v9
	v_min_u32_e32 v17, 32, v17
	v_sub_nc_u32_e32 v14, 31, v17
	v_lshlrev_b32_e32 v18, 23, v17
	v_alignbit_b32 v15, v15, v11, v14
	v_alignbit_b32 v8, v11, v8, v14
	v_lshlrev_b32_e32 v11, 31, v16
	v_alignbit_b32 v14, v15, v8, 9
	v_or_b32_e32 v16, 0.5, v11
	v_lshrrev_b32_e32 v15, 9, v15
	v_or_b32_e32 v11, 0x33000000, v11
	v_ffbh_u32_e32 v19, v14
	v_sub_nc_u32_e32 v16, v16, v18
	v_min_u32_e32 v18, 32, v19
	v_or_b32_e32 v15, v15, v16
	v_not_b32_e32 v16, v18
	v_mul_f32_e32 v19, 0x3fc90fda, v15
	v_add_lshl_u32 v17, v18, v17, 23
	v_alignbit_b32 v8, v14, v8, v16
	v_fma_f32 v14, 0x3fc90fda, v15, -v19
	v_sub_nc_u32_e32 v11, v11, v17
	v_lshrrev_b32_e32 v8, 9, v8
	v_fmamk_f32 v14, v15, 0x33a22168, v14
	v_or_b32_e32 v8, v11, v8
	v_fmac_f32_e32 v14, 0x3fc90fda, v8
	v_add_f32_e32 v8, v19, v14
	s_or_saveexec_b32 s4, s10
	v_mul_f32_e64 v14, 0x3f22f983, |v2|
	s_xor_b32 exec_lo, exec_lo, s4
	s_branch .LBB13_42
.LBB13_41:
	s_or_saveexec_b32 s4, s10
	v_mul_f32_e64 v14, 0x3f22f983, |v2|
	s_xor_b32 exec_lo, exec_lo, s4
.LBB13_42:
	v_rndne_f32_e32 v9, v14
	v_fma_f32 v8, 0xbfc90fda, v9, |v2|
	v_fmamk_f32 v8, v9, 0xb3a22168, v8
	v_fmamk_f32 v8, v9, 0xa7c234c4, v8
	v_cvt_i32_f32_e32 v9, v9
; %bb.43:
	s_or_b32 exec_lo, exec_lo, s4
                                        ; implicit-def: $vgpr13
                                        ; implicit-def: $vgpr11
	s_and_saveexec_b32 s4, s6
	s_xor_b32 s6, exec_lo, s4
	s_cbranch_execz .LBB13_45
; %bb.44:
	s_mov_b32 s4, 0x7fffff
	v_mov_b32_e32 v15, 0
	v_and_or_b32 v21, v3, s4, 0x800000
	v_mad_u64_u32 v[13:14], null, 0xfe5163ab, v21, 0
	v_mad_u64_u32 v[16:17], null, 0x3c439041, v21, v[14:15]
	v_mov_b32_e32 v14, v17
	v_mad_u64_u32 v[17:18], null, 0xdb629599, v21, v[14:15]
	v_mov_b32_e32 v14, v18
	v_mad_u64_u32 v[18:19], null, 0xf534ddc0, v21, v[14:15]
	v_mov_b32_e32 v14, v19
	v_add_nc_u32_e32 v19, 0xffffff88, v12
	v_mad_u64_u32 v[11:12], null, 0xfc2757d1, v21, v[14:15]
	v_cmp_lt_u32_e32 vcc_lo, 63, v19
	v_cndmask_b32_e64 v20, 0, 0xffffffc0, vcc_lo
	v_mov_b32_e32 v14, v12
	v_cndmask_b32_e32 v16, v18, v16, vcc_lo
	v_cndmask_b32_e32 v13, v17, v13, vcc_lo
	v_add_nc_u32_e32 v12, v20, v19
	v_mad_u64_u32 v[19:20], null, 0x4e441529, v21, v[14:15]
	v_cmp_lt_u32_e64 s4, 31, v12
	v_mov_b32_e32 v14, v20
	v_cndmask_b32_e64 v22, 0, 0xffffffe0, s4
	v_cndmask_b32_e64 v13, v16, v13, s4
	v_mad_u64_u32 v[14:15], null, 0xa2f9836e, v21, v[14:15]
	v_add_nc_u32_e32 v12, v22, v12
	v_cndmask_b32_e32 v21, v19, v18, vcc_lo
	v_cmp_lt_u32_e64 s5, 31, v12
	v_cndmask_b32_e32 v14, v14, v11, vcc_lo
	v_cndmask_b32_e32 v15, v15, v19, vcc_lo
	;; [unrolled: 1-line block ×3, first 2 shown]
	v_cndmask_b32_e64 v20, 0, 0xffffffe0, s5
	v_cndmask_b32_e64 v18, v14, v21, s4
	;; [unrolled: 1-line block ×5, first 2 shown]
	v_add_nc_u32_e32 v12, v20, v12
	v_cndmask_b32_e64 v14, v14, v18, s5
	v_cndmask_b32_e64 v18, v18, v15, s5
	;; [unrolled: 1-line block ×3, first 2 shown]
	v_sub_nc_u32_e32 v19, 32, v12
	v_cmp_eq_u32_e32 vcc_lo, 0, v12
	v_cndmask_b32_e64 v11, v11, v13, s5
	v_alignbit_b32 v20, v14, v18, v19
	v_alignbit_b32 v17, v18, v15, v19
	v_cndmask_b32_e32 v12, v20, v14, vcc_lo
	v_cndmask_b32_e32 v14, v17, v18, vcc_lo
	v_alignbit_b32 v18, v15, v11, v19
	v_bfe_u32 v16, v12, 29, 1
	v_alignbit_b32 v13, v12, v14, 30
	v_cndmask_b32_e32 v15, v18, v15, vcc_lo
	v_sub_nc_u32_e32 v17, 0, v16
	v_alignbit_b32 v14, v14, v15, 30
	v_alignbit_b32 v11, v15, v11, 30
	v_xor_b32_e32 v13, v13, v17
	v_xor_b32_e32 v14, v14, v17
	;; [unrolled: 1-line block ×3, first 2 shown]
	v_lshrrev_b32_e32 v17, 29, v12
	v_ffbh_u32_e32 v18, v13
	v_lshrrev_b32_e32 v12, 30, v12
	v_min_u32_e32 v18, 32, v18
	v_sub_nc_u32_e32 v15, 31, v18
	v_lshlrev_b32_e32 v19, 23, v18
	v_alignbit_b32 v13, v13, v14, v15
	v_alignbit_b32 v11, v14, v11, v15
	v_lshlrev_b32_e32 v14, 31, v17
	v_alignbit_b32 v15, v13, v11, 9
	v_or_b32_e32 v17, 0.5, v14
	v_lshrrev_b32_e32 v13, 9, v13
	v_or_b32_e32 v14, 0x33000000, v14
	v_ffbh_u32_e32 v20, v15
	v_sub_nc_u32_e32 v17, v17, v19
	v_min_u32_e32 v19, 32, v20
	v_or_b32_e32 v13, v13, v17
	v_not_b32_e32 v17, v19
	v_mul_f32_e32 v20, 0x3fc90fda, v13
	v_add_lshl_u32 v18, v19, v18, 23
	v_alignbit_b32 v11, v15, v11, v17
	v_fma_f32 v15, 0x3fc90fda, v13, -v20
	v_sub_nc_u32_e32 v14, v14, v18
	v_lshrrev_b32_e32 v11, 9, v11
	v_fmamk_f32 v13, v13, 0x33a22168, v15
	v_or_b32_e32 v11, v14, v11
                                        ; implicit-def: $vgpr14
	v_fmac_f32_e32 v13, 0x3fc90fda, v11
	v_add_f32_e32 v11, v20, v13
	v_add_nc_u32_e32 v13, v16, v12
	s_andn2_saveexec_b32 s4, s6
	s_cbranch_execnz .LBB13_46
	s_branch .LBB13_47
.LBB13_45:
	s_andn2_saveexec_b32 s4, s6
.LBB13_46:
	v_rndne_f32_e32 v12, v14
	v_fma_f32 v11, 0xbfc90fda, v12, |v2|
	v_cvt_i32_f32_e32 v13, v12
	v_fmamk_f32 v11, v12, 0xb3a22168, v11
	v_fmamk_f32 v11, v12, 0xa7c234c4, v11
.LBB13_47:
	s_or_b32 exec_lo, exec_lo, s4
	v_div_scale_f32 v12, null, v4, v4, 0x40a00000
	v_div_scale_f32 v16, vcc_lo, 0x40a00000, v4, 0x40a00000
	s_mov_b32 s4, 0xb94c1982
	v_rcp_f32_e32 v14, v12
	v_mul_f32_e32 v23, 0x4f800000, v4
	s_mov_b32 s5, 0x37d75334
	v_and_b32_e32 v18, 1, v13
	v_xor_b32_e32 v3, v3, v2
	v_lshlrev_b32_e32 v13, 30, v13
	v_and_b32_e32 v13, 0x80000000, v13
	v_fma_f32 v15, -v12, v14, 1.0
	v_fmac_f32_e32 v14, v15, v14
	v_mul_f32_e32 v15, v16, v14
	v_fma_f32 v17, -v12, v15, v16
	v_fmac_f32_e32 v15, v17, v14
	v_mul_f32_e32 v17, v11, v11
	v_fma_f32 v12, -v12, v15, v16
	v_fmaak_f32 v26, s4, v17, 0x3c0881c4
	v_fmaak_f32 v27, s5, v17, 0xbab64f3b
	v_div_fmas_f32 v12, v12, v14, v15
	v_mul_f32_e32 v14, v8, v8
	v_fmaak_f32 v27, v17, v27, 0x3d2aabf7
	v_and_b32_e32 v15, 1, v9
	v_fmaak_f32 v26, v17, v26, 0xbe2aaa9d
	v_div_fixup_f32 v12, v12, v4, 0x40a00000
	v_fmaak_f32 v24, s4, v14, 0x3c0881c4
	v_cmp_gt_f32_e64 s4, 0xf800000, v4
	v_fmaak_f32 v25, s5, v14, 0xbab64f3b
	v_fmaak_f32 v27, v17, v27, 0xbf000004
	v_mul_f32_e32 v16, v12, v12
	v_fmaak_f32 v24, v14, v24, 0xbe2aaa9d
	v_cndmask_b32_e64 v4, v4, v23, s4
	v_fmaak_f32 v25, v14, v25, 0x3d2aabf7
	v_mul_f32_e32 v26, v17, v26
	v_fmaak_f32 v19, 0, v16, 0x3d513fd3
	v_fmaak_f32 v20, 0, v16, 0x3a15c4d9
	;; [unrolled: 1-line block ×4, first 2 shown]
	v_mul_f32_e32 v24, v14, v24
	v_fmaak_f32 v19, v16, v19, 0x409f6dae
	v_fmaak_f32 v20, v16, v20, 0x3d8cfeeb
	;; [unrolled: 1-line block ×9, first 2 shown]
	v_fmac_f32_e32 v8, v8, v24
	v_fmaak_f32 v19, v16, v19, 0x43b763ca
	v_fmaak_f32 v20, v16, v20, 0x40a25d18
	;; [unrolled: 1-line block ×4, first 2 shown]
	v_sqrt_f32_e32 v30, v4
	v_fmaak_f32 v19, v16, v19, 0x4431b6ce
	v_fmaak_f32 v20, v16, v20, 0x410665cf
	;; [unrolled: 1-line block ×4, first 2 shown]
	v_fma_f32 v14, v14, v25, 1.0
	v_fmaak_f32 v19, v16, v19, 0x44155f56
	v_fmaak_f32 v20, v16, v20, 0x40a6b6ea
	;; [unrolled: 1-line block ×4, first 2 shown]
	v_fma_f32 v17, v17, v27, 1.0
	v_fmaak_f32 v19, v16, v19, 0x4353b052
	v_fma_f32 v20, v16, v20, 1.0
	v_fma_f32 v21, v16, v21, 1.0
	v_fmaak_f32 v22, v16, v22, 0x43a80bfb
	v_cmp_eq_u32_e64 s6, 0, v15
	v_fmaak_f32 v16, v16, v19, 0x41c9a7fa
	v_lshlrev_b32_e32 v9, 30, v9
	v_div_scale_f32 v19, null, v20, v20, v21
	v_div_scale_f32 v33, vcc_lo, v21, v20, v21
	v_div_scale_f32 v28, null, v22, v22, v16
	v_rcp_f32_e32 v23, v19
	v_fmac_f32_e32 v11, v11, v26
	v_cndmask_b32_e64 v8, v14, v8, s6
	v_rcp_f32_e32 v29, v28
	v_cmp_eq_u32_e64 s6, 0, v18
	v_and_b32_e32 v9, 0x80000000, v9
	v_add_nc_u32_e32 v26, -1, v30
	v_cndmask_b32_e64 v11, -v11, v17, s6
	v_fma_f32 v31, -v19, v23, 1.0
	v_fma_f32 v14, -v26, v30, v4
	v_xor3_b32 v3, v3, v9, v8
	v_fma_f32 v32, -v28, v29, 1.0
	v_xor_b32_e32 v11, v13, v11
	v_fmac_f32_e32 v23, v31, v23
	v_div_scale_f32 v31, s5, v16, v22, v16
	v_fmac_f32_e32 v29, v32, v29
	v_add_nc_u32_e32 v32, 1, v30
	v_mul_f32_e32 v24, v33, v23
	v_mul_f32_e32 v25, v31, v29
	v_fma_f32 v15, -v32, v30, v4
	v_fma_f32 v27, -v19, v24, v33
	;; [unrolled: 1-line block ×3, first 2 shown]
	v_fmac_f32_e32 v24, v27, v23
	v_fmac_f32_e32 v25, v34, v29
	v_fma_f32 v17, -v19, v24, v33
	v_fma_f32 v8, -v28, v25, v31
	v_div_fmas_f32 v9, v17, v23, v24
	s_mov_b32 vcc_lo, s5
	v_cmp_ge_f32_e64 s5, 0, v14
	v_div_fmas_f32 v8, v8, v29, v25
	v_cmp_class_f32_e64 vcc_lo, v2, 0x1f8
	v_div_fixup_f32 v9, v9, v20, v21
	v_cndmask_b32_e64 v2, v30, v26, s5
	v_div_fixup_f32 v8, v8, v22, v16
	v_cmp_lt_f32_e64 s5, 0, v15
	v_cndmask_b32_e32 v11, 0x7fc00000, v11, vcc_lo
	v_cndmask_b32_e32 v3, 0x7fc00000, v3, vcc_lo
	v_cmp_class_f32_e64 vcc_lo, v4, 0x260
	v_mul_f32_e32 v8, v12, v8
	v_cndmask_b32_e64 v2, v2, v32, s5
	v_mul_f32_e32 v8, v8, v11
	v_mul_f32_e32 v12, 0x37800000, v2
	v_fmac_f32_e32 v8, v9, v3
	v_cndmask_b32_e64 v2, v2, v12, s4
	v_mul_f32_e32 v3, 0x3f4c422a, v8
	v_cndmask_b32_e32 v2, v2, v4, vcc_lo
	v_div_scale_f32 v4, null, v2, v2, v3
	v_rcp_f32_e32 v8, v4
	v_fma_f32 v9, -v4, v8, 1.0
	v_fmac_f32_e32 v8, v9, v8
	v_div_scale_f32 v9, vcc_lo, v3, v2, v3
	v_mul_f32_e32 v11, v9, v8
	v_fma_f32 v12, -v4, v11, v9
	v_fmac_f32_e32 v11, v12, v8
	v_fma_f32 v4, -v4, v11, v9
	v_div_fmas_f32 v4, v4, v8, v11
	v_div_fixup_f32 v8, v4, v2, v3
.LBB13_48:
	s_or_b32 exec_lo, exec_lo, s7
	s_mov_b32 s4, exec_lo
	v_cmpx_ge_f32_e32 0x40a00000, v5
	s_xor_b32 s7, exec_lo, s4
	s_cbranch_execz .LBB13_54
; %bb.49:
	v_mov_b32_e32 v9, 0xff800000
	s_mov_b32 s10, exec_lo
	v_cmpx_neq_f32_e32 0, v5
	s_cbranch_execz .LBB13_53
; %bb.50:
	v_mov_b32_e32 v9, 0x7fc00000
	s_mov_b32 s11, exec_lo
	v_cmpx_nge_f32_e32 0, v5
	s_cbranch_execz .LBB13_52
; %bb.51:
	v_mul_f32_e32 v2, v5, v5
	v_cmp_gt_f32_e64 s4, 0x800000, v5
	v_div_scale_f32 v16, null, v5, v5, -1.0
	v_div_scale_f32 v25, s6, -1.0, v5, -1.0
	v_fmaak_f32 v3, 0, v2, 0x4414934d
	v_fmaak_f32 v4, 0, v2, 0x441b3589
	;; [unrolled: 1-line block ×4, first 2 shown]
	v_cndmask_b32_e64 v15, 0, 32, s4
	v_fmaak_f32 v3, v2, v3, 0x48660b06
	v_fmaak_f32 v4, v2, v4, 0x487af6d0
	;; [unrolled: 1-line block ×4, first 2 shown]
	v_rcp_f32_e32 v17, v16
	v_fmaak_f32 v3, v2, v3, 0x4c8c277d
	v_fmaak_f32 v4, v2, v4, 0x4c9f4aa7
	;; [unrolled: 1-line block ×4, first 2 shown]
	v_ldexp_f32 v15, v5, v15
	v_fmaak_f32 v3, v2, v3, 0x508bc61d
	v_fmaak_f32 v4, v2, v4, 0x50a509fc
	;; [unrolled: 1-line block ×4, first 2 shown]
	v_log_f32_e32 v15, v15
	v_fmaak_f32 v3, v2, v3, 0x5461faf8
	v_fmaak_f32 v4, v2, v4, 0x548a37dc
	;; [unrolled: 1-line block ×3, first 2 shown]
	v_fma_f32 v22, -v16, v17, 1.0
	v_fmaak_f32 v3, v2, v3, 0x580d1937
	v_fmaak_f32 v4, v2, v4, 0x58325852
	;; [unrolled: 1-line block ×3, first 2 shown]
	v_fmac_f32_e32 v17, v22, v17
	v_mul_f32_e32 v26, 0x3f317217, v15
	v_fmaak_f32 v3, v2, v3, 0x5b741f1e
	v_fmaak_f32 v4, v2, v4, 0x5b9f0600
	v_fma_f32 v22, 0x3f317217, v15, -v26
	v_fmaak_f32 v3, v2, v3, 0x5e5c878d
	v_fmaak_f32 v2, v2, v4, 0x5e93bcac
	v_div_scale_f32 v4, null, v3, v3, v9
	v_div_scale_f32 v12, null, v2, v2, v11
	v_div_scale_f32 v20, vcc_lo, v9, v3, v9
	v_rcp_f32_e32 v13, v4
	v_rcp_f32_e32 v14, v12
	v_div_scale_f32 v21, s5, v11, v2, v11
	v_fma_f32 v18, -v4, v13, 1.0
	v_fma_f32 v19, -v12, v14, 1.0
	v_fmac_f32_e32 v13, v18, v13
	v_fmac_f32_e32 v14, v19, v14
	v_mul_f32_e32 v18, v20, v13
	v_mul_f32_e32 v19, v21, v14
	v_fma_f32 v23, -v4, v18, v20
	v_fma_f32 v24, -v12, v19, v21
	v_fmac_f32_e32 v18, v23, v13
	v_fmac_f32_e32 v19, v24, v14
	v_fma_f32 v4, -v4, v18, v20
	v_mul_f32_e32 v20, v25, v17
	v_fma_f32 v12, -v12, v19, v21
	v_div_fmas_f32 v4, v4, v13, v18
	s_mov_b32 vcc_lo, s5
	v_fma_f32 v13, -v16, v20, v25
	v_div_fmas_f32 v12, v12, v14, v19
	v_fmamk_f32 v14, v15, 0x3377d1cf, v22
	v_cmp_gt_f32_e64 vcc_lo, 0x7f800000, |v15|
	v_fmac_f32_e32 v20, v13, v17
	v_div_fixup_f32 v2, v12, v2, v11
	v_fmac_f32_e32 v14, 0x3f317217, v15
	v_fmaak_f32 v11, v5, v5, 0xc16ae95a
	v_fmaak_f32 v12, v5, v5, 0xc244dfb3
	v_fma_f32 v16, -v16, v20, v25
	v_mul_f32_e32 v2, v5, v2
	v_cndmask_b32_e32 v14, v15, v14, vcc_lo
	s_mov_b32 vcc_lo, s6
	v_cndmask_b32_e64 v13, 0, 0x41b17218, s4
	v_mul_f32_e32 v2, v11, v2
	v_div_fmas_f32 v11, v16, v17, v20
	v_sub_f32_e32 v13, v14, v13
	v_mul_f32_e32 v2, v12, v2
	v_div_fixup_f32 v11, v11, v5, -1.0
	v_fmac_f32_e32 v11, v13, v2
	v_div_fixup_f32 v2, v4, v3, v9
	v_mul_f32_e32 v9, 0x3f22f983, v11
	v_fmac_f32_e32 v9, v5, v2
.LBB13_52:
	s_or_b32 exec_lo, exec_lo, s11
.LBB13_53:
	s_or_b32 exec_lo, exec_lo, s10
                                        ; implicit-def: $vgpr2_vgpr3_vgpr4_vgpr5
.LBB13_54:
	s_andn2_saveexec_b32 s7, s7
	s_cbranch_execz .LBB13_64
; %bb.55:
	v_add_f32_e32 v2, 0xc016cbe4, v5
                                        ; implicit-def: $vgpr9
                                        ; implicit-def: $vgpr4
	v_and_b32_e32 v3, 0x7fffffff, v2
	v_cmp_ngt_f32_e64 s6, 0x48000000, |v2|
	v_lshrrev_b32_e32 v12, 23, v3
	s_and_saveexec_b32 s4, s6
	s_xor_b32 s10, exec_lo, s4
	s_cbranch_execz .LBB13_57
; %bb.56:
	s_mov_b32 s4, 0x7fffff
	v_mov_b32_e32 v15, 0
	v_and_or_b32 v4, v3, s4, 0x800000
	v_add_nc_u32_e32 v9, 0xffffff88, v12
	v_mad_u64_u32 v[13:14], null, 0xfe5163ab, v4, 0
	v_cmp_lt_u32_e32 vcc_lo, 63, v9
	v_cndmask_b32_e64 v11, 0, 0xffffffc0, vcc_lo
	v_mad_u64_u32 v[16:17], null, 0x3c439041, v4, v[14:15]
	v_add_nc_u32_e32 v9, v11, v9
	v_mov_b32_e32 v14, v17
	v_cmp_lt_u32_e64 s4, 31, v9
	v_mad_u64_u32 v[17:18], null, 0xdb629599, v4, v[14:15]
	v_cndmask_b32_e64 v11, 0, 0xffffffe0, s4
	v_add_nc_u32_e32 v9, v11, v9
	v_mov_b32_e32 v14, v18
	v_cndmask_b32_e32 v13, v17, v13, vcc_lo
	v_cmp_lt_u32_e64 s5, 31, v9
	v_mad_u64_u32 v[18:19], null, 0xf534ddc0, v4, v[14:15]
	v_mov_b32_e32 v14, v19
	v_mad_u64_u32 v[19:20], null, 0xfc2757d1, v4, v[14:15]
	v_mov_b32_e32 v14, v20
	;; [unrolled: 2-line block ×3, first 2 shown]
	v_cndmask_b32_e32 v11, v20, v18, vcc_lo
	v_mad_u64_u32 v[14:15], null, 0xa2f9836e, v4, v[14:15]
	v_cndmask_b32_e64 v4, 0, 0xffffffe0, s5
	v_add_nc_u32_e32 v4, v4, v9
	v_cndmask_b32_e32 v14, v14, v19, vcc_lo
	v_cndmask_b32_e32 v15, v15, v20, vcc_lo
	;; [unrolled: 1-line block ×4, first 2 shown]
	v_cmp_eq_u32_e32 vcc_lo, 0, v4
	v_cndmask_b32_e64 v16, v14, v11, s4
	v_cndmask_b32_e64 v14, v15, v14, s4
	;; [unrolled: 1-line block ×3, first 2 shown]
	v_sub_nc_u32_e32 v15, 32, v4
	v_cndmask_b32_e64 v18, v19, v9, s4
	v_cndmask_b32_e64 v9, v9, v13, s4
	;; [unrolled: 1-line block ×6, first 2 shown]
	v_alignbit_b32 v19, v14, v16, v15
	v_alignbit_b32 v17, v16, v11, v15
	;; [unrolled: 1-line block ×3, first 2 shown]
	v_cndmask_b32_e32 v4, v19, v14, vcc_lo
	v_cndmask_b32_e32 v13, v17, v16, vcc_lo
	;; [unrolled: 1-line block ×3, first 2 shown]
	v_bfe_u32 v14, v4, 29, 1
	v_alignbit_b32 v16, v4, v13, 30
	v_alignbit_b32 v13, v13, v11, 30
	;; [unrolled: 1-line block ×3, first 2 shown]
	v_sub_nc_u32_e32 v17, 0, v14
	v_xor_b32_e32 v16, v16, v17
	v_xor_b32_e32 v11, v13, v17
	;; [unrolled: 1-line block ×3, first 2 shown]
	v_lshrrev_b32_e32 v17, 29, v4
	v_ffbh_u32_e32 v15, v16
	v_min_u32_e32 v15, 32, v15
	v_sub_nc_u32_e32 v13, 31, v15
	v_lshlrev_b32_e32 v18, 23, v15
	v_alignbit_b32 v16, v16, v11, v13
	v_alignbit_b32 v9, v11, v9, v13
	v_lshlrev_b32_e32 v11, 31, v17
	v_alignbit_b32 v13, v16, v9, 9
	v_or_b32_e32 v17, 0.5, v11
	v_lshrrev_b32_e32 v16, 9, v16
	v_or_b32_e32 v11, 0x33000000, v11
	v_ffbh_u32_e32 v19, v13
	v_sub_nc_u32_e32 v17, v17, v18
	v_min_u32_e32 v18, 32, v19
	v_or_b32_e32 v16, v16, v17
	v_not_b32_e32 v17, v18
	v_mul_f32_e32 v19, 0x3fc90fda, v16
	v_add_lshl_u32 v15, v18, v15, 23
	v_alignbit_b32 v9, v13, v9, v17
	v_fma_f32 v13, 0x3fc90fda, v16, -v19
	v_sub_nc_u32_e32 v11, v11, v15
	v_lshrrev_b32_e32 v9, 9, v9
	v_fmamk_f32 v13, v16, 0x33a22168, v13
	v_or_b32_e32 v9, v11, v9
	v_fmac_f32_e32 v13, 0x3fc90fda, v9
	v_lshrrev_b32_e32 v9, 30, v4
	v_add_f32_e32 v4, v19, v13
	v_add_nc_u32_e32 v9, v14, v9
	s_or_saveexec_b32 s4, s10
	v_mul_f32_e64 v14, 0x3f22f983, |v2|
	s_xor_b32 exec_lo, exec_lo, s4
	s_branch .LBB13_58
.LBB13_57:
	s_or_saveexec_b32 s4, s10
	v_mul_f32_e64 v14, 0x3f22f983, |v2|
	s_xor_b32 exec_lo, exec_lo, s4
.LBB13_58:
	v_rndne_f32_e32 v9, v14
	v_fma_f32 v4, 0xbfc90fda, v9, |v2|
	v_fmamk_f32 v4, v9, 0xb3a22168, v4
	v_fmamk_f32 v4, v9, 0xa7c234c4, v4
	v_cvt_i32_f32_e32 v9, v9
; %bb.59:
	s_or_b32 exec_lo, exec_lo, s4
                                        ; implicit-def: $vgpr13
                                        ; implicit-def: $vgpr11
	s_and_saveexec_b32 s4, s6
	s_xor_b32 s6, exec_lo, s4
	s_cbranch_execz .LBB13_61
; %bb.60:
	s_mov_b32 s4, 0x7fffff
	v_mov_b32_e32 v15, 0
	v_and_or_b32 v21, v3, s4, 0x800000
	v_mad_u64_u32 v[13:14], null, 0xfe5163ab, v21, 0
	v_mad_u64_u32 v[16:17], null, 0x3c439041, v21, v[14:15]
	v_mov_b32_e32 v14, v17
	v_mad_u64_u32 v[17:18], null, 0xdb629599, v21, v[14:15]
	v_mov_b32_e32 v14, v18
	;; [unrolled: 2-line block ×3, first 2 shown]
	v_add_nc_u32_e32 v19, 0xffffff88, v12
	v_mad_u64_u32 v[11:12], null, 0xfc2757d1, v21, v[14:15]
	v_cmp_lt_u32_e32 vcc_lo, 63, v19
	v_cndmask_b32_e64 v20, 0, 0xffffffc0, vcc_lo
	v_mov_b32_e32 v14, v12
	v_cndmask_b32_e32 v16, v18, v16, vcc_lo
	v_cndmask_b32_e32 v13, v17, v13, vcc_lo
	v_add_nc_u32_e32 v12, v20, v19
	v_mad_u64_u32 v[19:20], null, 0x4e441529, v21, v[14:15]
	v_cmp_lt_u32_e64 s4, 31, v12
	v_mov_b32_e32 v14, v20
	v_cndmask_b32_e64 v22, 0, 0xffffffe0, s4
	v_cndmask_b32_e64 v13, v16, v13, s4
	v_mad_u64_u32 v[14:15], null, 0xa2f9836e, v21, v[14:15]
	v_add_nc_u32_e32 v12, v22, v12
	v_cndmask_b32_e32 v21, v19, v18, vcc_lo
	v_cmp_lt_u32_e64 s5, 31, v12
	v_cndmask_b32_e32 v14, v14, v11, vcc_lo
	v_cndmask_b32_e32 v15, v15, v19, vcc_lo
	;; [unrolled: 1-line block ×3, first 2 shown]
	v_cndmask_b32_e64 v20, 0, 0xffffffe0, s5
	v_cndmask_b32_e64 v18, v14, v21, s4
	;; [unrolled: 1-line block ×5, first 2 shown]
	v_add_nc_u32_e32 v12, v20, v12
	v_cndmask_b32_e64 v14, v14, v18, s5
	v_cndmask_b32_e64 v18, v18, v15, s5
	v_cndmask_b32_e64 v15, v15, v11, s5
	v_sub_nc_u32_e32 v19, 32, v12
	v_cmp_eq_u32_e32 vcc_lo, 0, v12
	v_cndmask_b32_e64 v11, v11, v13, s5
	v_alignbit_b32 v20, v14, v18, v19
	v_alignbit_b32 v17, v18, v15, v19
	v_cndmask_b32_e32 v12, v20, v14, vcc_lo
	v_cndmask_b32_e32 v14, v17, v18, vcc_lo
	v_alignbit_b32 v18, v15, v11, v19
	v_bfe_u32 v16, v12, 29, 1
	v_alignbit_b32 v13, v12, v14, 30
	v_cndmask_b32_e32 v15, v18, v15, vcc_lo
	v_sub_nc_u32_e32 v17, 0, v16
	v_alignbit_b32 v14, v14, v15, 30
	v_alignbit_b32 v11, v15, v11, 30
	v_xor_b32_e32 v13, v13, v17
	v_xor_b32_e32 v14, v14, v17
	;; [unrolled: 1-line block ×3, first 2 shown]
	v_lshrrev_b32_e32 v17, 29, v12
	v_ffbh_u32_e32 v18, v13
	v_lshrrev_b32_e32 v12, 30, v12
	v_min_u32_e32 v18, 32, v18
	v_sub_nc_u32_e32 v15, 31, v18
	v_lshlrev_b32_e32 v19, 23, v18
	v_alignbit_b32 v13, v13, v14, v15
	v_alignbit_b32 v11, v14, v11, v15
	v_lshlrev_b32_e32 v14, 31, v17
	v_alignbit_b32 v15, v13, v11, 9
	v_or_b32_e32 v17, 0.5, v14
	v_lshrrev_b32_e32 v13, 9, v13
	v_or_b32_e32 v14, 0x33000000, v14
	v_ffbh_u32_e32 v20, v15
	v_sub_nc_u32_e32 v17, v17, v19
	v_min_u32_e32 v19, 32, v20
	v_or_b32_e32 v13, v13, v17
	v_not_b32_e32 v17, v19
	v_mul_f32_e32 v20, 0x3fc90fda, v13
	v_add_lshl_u32 v18, v19, v18, 23
	v_alignbit_b32 v11, v15, v11, v17
	v_fma_f32 v15, 0x3fc90fda, v13, -v20
	v_sub_nc_u32_e32 v14, v14, v18
	v_lshrrev_b32_e32 v11, 9, v11
	v_fmamk_f32 v13, v13, 0x33a22168, v15
	v_or_b32_e32 v11, v14, v11
                                        ; implicit-def: $vgpr14
	v_fmac_f32_e32 v13, 0x3fc90fda, v11
	v_add_f32_e32 v11, v20, v13
	v_add_nc_u32_e32 v13, v16, v12
	s_andn2_saveexec_b32 s4, s6
	s_cbranch_execnz .LBB13_62
	s_branch .LBB13_63
.LBB13_61:
	s_andn2_saveexec_b32 s4, s6
.LBB13_62:
	v_rndne_f32_e32 v12, v14
	v_fma_f32 v11, 0xbfc90fda, v12, |v2|
	v_cvt_i32_f32_e32 v13, v12
	v_fmamk_f32 v11, v12, 0xb3a22168, v11
	v_fmamk_f32 v11, v12, 0xa7c234c4, v11
.LBB13_63:
	s_or_b32 exec_lo, exec_lo, s4
	v_div_scale_f32 v12, null, v5, v5, 0x40a00000
	v_div_scale_f32 v16, vcc_lo, 0x40a00000, v5, 0x40a00000
	s_mov_b32 s4, 0xb94c1982
	v_rcp_f32_e32 v14, v12
	v_mul_f32_e32 v23, 0x4f800000, v5
	s_mov_b32 s5, 0x37d75334
	v_and_b32_e32 v18, 1, v13
	v_xor_b32_e32 v3, v3, v2
	v_lshlrev_b32_e32 v13, 30, v13
	v_and_b32_e32 v13, 0x80000000, v13
	v_fma_f32 v15, -v12, v14, 1.0
	v_fmac_f32_e32 v14, v15, v14
	v_mul_f32_e32 v15, v16, v14
	v_fma_f32 v17, -v12, v15, v16
	v_fmac_f32_e32 v15, v17, v14
	v_mul_f32_e32 v17, v11, v11
	v_fma_f32 v12, -v12, v15, v16
	v_fmaak_f32 v26, s4, v17, 0x3c0881c4
	v_fmaak_f32 v27, s5, v17, 0xbab64f3b
	v_div_fmas_f32 v12, v12, v14, v15
	v_mul_f32_e32 v14, v4, v4
	v_fmaak_f32 v27, v17, v27, 0x3d2aabf7
	v_and_b32_e32 v15, 1, v9
	v_fmaak_f32 v26, v17, v26, 0xbe2aaa9d
	v_div_fixup_f32 v12, v12, v5, 0x40a00000
	v_fmaak_f32 v24, s4, v14, 0x3c0881c4
	v_cmp_gt_f32_e64 s4, 0xf800000, v5
	v_fmaak_f32 v25, s5, v14, 0xbab64f3b
	v_fmaak_f32 v27, v17, v27, 0xbf000004
	v_mul_f32_e32 v16, v12, v12
	v_fmaak_f32 v24, v14, v24, 0xbe2aaa9d
	v_cndmask_b32_e64 v5, v5, v23, s4
	v_fmaak_f32 v25, v14, v25, 0x3d2aabf7
	v_mul_f32_e32 v26, v17, v26
	v_fmaak_f32 v19, 0, v16, 0x3d513fd3
	v_fmaak_f32 v20, 0, v16, 0x3a15c4d9
	v_fmaak_f32 v21, 0, v16, 0x3a47c962
	v_fmaak_f32 v22, 0, v16, 0x42947983
	v_mul_f32_e32 v24, v14, v24
	v_fmaak_f32 v19, v16, v19, 0x409f6dae
	v_fmaak_f32 v20, v16, v20, 0x3d8cfeeb
	;; [unrolled: 1-line block ×9, first 2 shown]
	v_fmac_f32_e32 v4, v4, v24
	v_fmaak_f32 v19, v16, v19, 0x43b763ca
	v_fmaak_f32 v20, v16, v20, 0x40a25d18
	;; [unrolled: 1-line block ×4, first 2 shown]
	v_sqrt_f32_e32 v30, v5
	v_fmaak_f32 v19, v16, v19, 0x4431b6ce
	v_fmaak_f32 v20, v16, v20, 0x410665cf
	;; [unrolled: 1-line block ×4, first 2 shown]
	v_fma_f32 v14, v14, v25, 1.0
	v_fmaak_f32 v19, v16, v19, 0x44155f56
	v_fmaak_f32 v20, v16, v20, 0x40a6b6ea
	;; [unrolled: 1-line block ×4, first 2 shown]
	v_fma_f32 v17, v17, v27, 1.0
	v_fmaak_f32 v19, v16, v19, 0x4353b052
	v_fma_f32 v20, v16, v20, 1.0
	v_fma_f32 v21, v16, v21, 1.0
	v_fmaak_f32 v22, v16, v22, 0x43a80bfb
	v_cmp_eq_u32_e64 s6, 0, v15
	v_fmaak_f32 v16, v16, v19, 0x41c9a7fa
	v_lshlrev_b32_e32 v9, 30, v9
	v_div_scale_f32 v19, null, v20, v20, v21
	v_div_scale_f32 v33, vcc_lo, v21, v20, v21
	v_div_scale_f32 v28, null, v22, v22, v16
	v_rcp_f32_e32 v23, v19
	v_fmac_f32_e32 v11, v11, v26
	v_cndmask_b32_e64 v4, v14, v4, s6
	v_rcp_f32_e32 v29, v28
	v_cmp_eq_u32_e64 s6, 0, v18
	v_and_b32_e32 v9, 0x80000000, v9
	v_add_nc_u32_e32 v26, -1, v30
	v_cndmask_b32_e64 v11, -v11, v17, s6
	v_fma_f32 v31, -v19, v23, 1.0
	v_fma_f32 v14, -v26, v30, v5
	v_xor3_b32 v3, v3, v9, v4
	v_fma_f32 v32, -v28, v29, 1.0
	v_xor_b32_e32 v11, v13, v11
	v_fmac_f32_e32 v23, v31, v23
	v_div_scale_f32 v31, s5, v16, v22, v16
	v_fmac_f32_e32 v29, v32, v29
	v_add_nc_u32_e32 v32, 1, v30
	v_mul_f32_e32 v24, v33, v23
	v_mul_f32_e32 v25, v31, v29
	v_fma_f32 v15, -v32, v30, v5
	v_fma_f32 v27, -v19, v24, v33
	;; [unrolled: 1-line block ×3, first 2 shown]
	v_fmac_f32_e32 v24, v27, v23
	v_fmac_f32_e32 v25, v34, v29
	v_fma_f32 v17, -v19, v24, v33
	v_fma_f32 v4, -v28, v25, v31
	v_div_fmas_f32 v9, v17, v23, v24
	s_mov_b32 vcc_lo, s5
	v_cmp_ge_f32_e64 s5, 0, v14
	v_div_fmas_f32 v4, v4, v29, v25
	v_cmp_class_f32_e64 vcc_lo, v2, 0x1f8
	v_div_fixup_f32 v9, v9, v20, v21
	v_cndmask_b32_e64 v2, v30, v26, s5
	v_div_fixup_f32 v4, v4, v22, v16
	v_cmp_lt_f32_e64 s5, 0, v15
	v_cndmask_b32_e32 v11, 0x7fc00000, v11, vcc_lo
	v_cndmask_b32_e32 v3, 0x7fc00000, v3, vcc_lo
	v_cmp_class_f32_e64 vcc_lo, v5, 0x260
	v_mul_f32_e32 v4, v12, v4
	v_cndmask_b32_e64 v2, v2, v32, s5
	v_mul_f32_e32 v4, v4, v11
	v_mul_f32_e32 v12, 0x37800000, v2
	v_fmac_f32_e32 v4, v9, v3
	v_cndmask_b32_e64 v2, v2, v12, s4
	v_mul_f32_e32 v3, 0x3f4c422a, v4
	v_cndmask_b32_e32 v2, v2, v5, vcc_lo
	v_div_scale_f32 v4, null, v2, v2, v3
	v_rcp_f32_e32 v5, v4
	v_fma_f32 v9, -v4, v5, 1.0
	v_fmac_f32_e32 v5, v9, v5
	v_div_scale_f32 v9, vcc_lo, v3, v2, v3
	v_mul_f32_e32 v11, v9, v5
	v_fma_f32 v12, -v4, v11, v9
	v_fmac_f32_e32 v11, v12, v5
	v_fma_f32 v4, -v4, v11, v9
	v_div_fmas_f32 v4, v4, v5, v11
	v_div_fixup_f32 v9, v4, v2, v3
.LBB13_64:
	s_or_b32 exec_lo, exec_lo, s7
	v_add_co_u32 v0, vcc_lo, v0, s8
	v_add_co_ci_u32_e64 v1, null, s9, v1, vcc_lo
	v_add_co_u32 v0, vcc_lo, v0, v10
	v_add_co_ci_u32_e64 v1, null, 0, v1, vcc_lo
	flat_store_dwordx4 v[0:1], v[6:9]
	s_waitcnt lgkmcnt(0)
	s_setpc_b64 s[30:31]
.Lfunc_end13:
	.size	_ZN2at6native25elementwise_kernel_helperILb0EZZZNS0_12_GLOBAL__N_121bessel_y1_kernel_cudaERNS_18TensorIteratorBaseEENKUlvE_clEvENKUlvE0_clEvEUlfE_NS0_6memory8policies10vectorizedILi4ESt5arrayIPcLm2EELi4EEEEEvT0_T1_, .Lfunc_end13-_ZN2at6native25elementwise_kernel_helperILb0EZZZNS0_12_GLOBAL__N_121bessel_y1_kernel_cudaERNS_18TensorIteratorBaseEENKUlvE_clEvENKUlvE0_clEvEUlfE_NS0_6memory8policies10vectorizedILi4ESt5arrayIPcLm2EELi4EEEEEvT0_T1_
                                        ; -- End function
	.set .L_ZN2at6native25elementwise_kernel_helperILb0EZZZNS0_12_GLOBAL__N_121bessel_y1_kernel_cudaERNS_18TensorIteratorBaseEENKUlvE_clEvENKUlvE0_clEvEUlfE_NS0_6memory8policies10vectorizedILi4ESt5arrayIPcLm2EELi4EEEEEvT0_T1_.num_vgpr, 35
	.set .L_ZN2at6native25elementwise_kernel_helperILb0EZZZNS0_12_GLOBAL__N_121bessel_y1_kernel_cudaERNS_18TensorIteratorBaseEENKUlvE_clEvENKUlvE0_clEvEUlfE_NS0_6memory8policies10vectorizedILi4ESt5arrayIPcLm2EELi4EEEEEvT0_T1_.num_agpr, 0
	.set .L_ZN2at6native25elementwise_kernel_helperILb0EZZZNS0_12_GLOBAL__N_121bessel_y1_kernel_cudaERNS_18TensorIteratorBaseEENKUlvE_clEvENKUlvE0_clEvEUlfE_NS0_6memory8policies10vectorizedILi4ESt5arrayIPcLm2EELi4EEEEEvT0_T1_.numbered_sgpr, 32
	.set .L_ZN2at6native25elementwise_kernel_helperILb0EZZZNS0_12_GLOBAL__N_121bessel_y1_kernel_cudaERNS_18TensorIteratorBaseEENKUlvE_clEvENKUlvE0_clEvEUlfE_NS0_6memory8policies10vectorizedILi4ESt5arrayIPcLm2EELi4EEEEEvT0_T1_.num_named_barrier, 0
	.set .L_ZN2at6native25elementwise_kernel_helperILb0EZZZNS0_12_GLOBAL__N_121bessel_y1_kernel_cudaERNS_18TensorIteratorBaseEENKUlvE_clEvENKUlvE0_clEvEUlfE_NS0_6memory8policies10vectorizedILi4ESt5arrayIPcLm2EELi4EEEEEvT0_T1_.private_seg_size, 0
	.set .L_ZN2at6native25elementwise_kernel_helperILb0EZZZNS0_12_GLOBAL__N_121bessel_y1_kernel_cudaERNS_18TensorIteratorBaseEENKUlvE_clEvENKUlvE0_clEvEUlfE_NS0_6memory8policies10vectorizedILi4ESt5arrayIPcLm2EELi4EEEEEvT0_T1_.uses_vcc, 1
	.set .L_ZN2at6native25elementwise_kernel_helperILb0EZZZNS0_12_GLOBAL__N_121bessel_y1_kernel_cudaERNS_18TensorIteratorBaseEENKUlvE_clEvENKUlvE0_clEvEUlfE_NS0_6memory8policies10vectorizedILi4ESt5arrayIPcLm2EELi4EEEEEvT0_T1_.uses_flat_scratch, 0
	.set .L_ZN2at6native25elementwise_kernel_helperILb0EZZZNS0_12_GLOBAL__N_121bessel_y1_kernel_cudaERNS_18TensorIteratorBaseEENKUlvE_clEvENKUlvE0_clEvEUlfE_NS0_6memory8policies10vectorizedILi4ESt5arrayIPcLm2EELi4EEEEEvT0_T1_.has_dyn_sized_stack, 0
	.set .L_ZN2at6native25elementwise_kernel_helperILb0EZZZNS0_12_GLOBAL__N_121bessel_y1_kernel_cudaERNS_18TensorIteratorBaseEENKUlvE_clEvENKUlvE0_clEvEUlfE_NS0_6memory8policies10vectorizedILi4ESt5arrayIPcLm2EELi4EEEEEvT0_T1_.has_recursion, 0
	.set .L_ZN2at6native25elementwise_kernel_helperILb0EZZZNS0_12_GLOBAL__N_121bessel_y1_kernel_cudaERNS_18TensorIteratorBaseEENKUlvE_clEvENKUlvE0_clEvEUlfE_NS0_6memory8policies10vectorizedILi4ESt5arrayIPcLm2EELi4EEEEEvT0_T1_.has_indirect_call, 0
	.section	.AMDGPU.csdata,"",@progbits
; Function info:
; codeLenInByte = 11668
; TotalNumSgprs: 34
; NumVgprs: 35
; ScratchSize: 0
; MemoryBound: 0
	.section	.text._ZN2at6native29vectorized_elementwise_kernelILi16EZZZNS0_12_GLOBAL__N_121bessel_y1_kernel_cudaERNS_18TensorIteratorBaseEENKUlvE_clEvENKUlvE0_clEvEUlfE_St5arrayIPcLm2EEEEviT0_T1_,"axG",@progbits,_ZN2at6native29vectorized_elementwise_kernelILi16EZZZNS0_12_GLOBAL__N_121bessel_y1_kernel_cudaERNS_18TensorIteratorBaseEENKUlvE_clEvENKUlvE0_clEvEUlfE_St5arrayIPcLm2EEEEviT0_T1_,comdat
	.globl	_ZN2at6native29vectorized_elementwise_kernelILi16EZZZNS0_12_GLOBAL__N_121bessel_y1_kernel_cudaERNS_18TensorIteratorBaseEENKUlvE_clEvENKUlvE0_clEvEUlfE_St5arrayIPcLm2EEEEviT0_T1_ ; -- Begin function _ZN2at6native29vectorized_elementwise_kernelILi16EZZZNS0_12_GLOBAL__N_121bessel_y1_kernel_cudaERNS_18TensorIteratorBaseEENKUlvE_clEvENKUlvE0_clEvEUlfE_St5arrayIPcLm2EEEEviT0_T1_
	.p2align	8
	.type	_ZN2at6native29vectorized_elementwise_kernelILi16EZZZNS0_12_GLOBAL__N_121bessel_y1_kernel_cudaERNS_18TensorIteratorBaseEENKUlvE_clEvENKUlvE0_clEvEUlfE_St5arrayIPcLm2EEEEviT0_T1_,@function
_ZN2at6native29vectorized_elementwise_kernelILi16EZZZNS0_12_GLOBAL__N_121bessel_y1_kernel_cudaERNS_18TensorIteratorBaseEENKUlvE_clEvENKUlvE0_clEvEUlfE_St5arrayIPcLm2EEEEviT0_T1_: ; @_ZN2at6native29vectorized_elementwise_kernelILi16EZZZNS0_12_GLOBAL__N_121bessel_y1_kernel_cudaERNS_18TensorIteratorBaseEENKUlvE_clEvENKUlvE0_clEvEUlfE_St5arrayIPcLm2EEEEviT0_T1_
; %bb.0:
	s_mov_b32 s12, s6
	s_clause 0x1
	s_load_dword s6, s[4:5], 0x0
	s_load_dwordx4 s[16:19], s[4:5], 0x8
	s_add_u32 s0, s0, s7
	s_addc_u32 s1, s1, 0
	s_lshl_b32 s4, s12, 10
	v_mov_b32_e32 v35, v0
	s_mov_b32 s32, 0
	s_waitcnt lgkmcnt(0)
	s_sub_i32 s13, s6, s4
	s_mov_b32 s4, -1
	s_cmpk_gt_i32 s13, 0x3ff
	s_cbranch_scc1 .LBB14_3
; %bb.1:
	s_andn2_b32 vcc_lo, exec_lo, s4
	s_cbranch_vccz .LBB14_4
.LBB14_2:
	s_endpgm
.LBB14_3:
	v_mov_b32_e32 v31, v35
	v_mov_b32_e32 v0, s16
	;; [unrolled: 1-line block ×5, first 2 shown]
	s_getpc_b64 s[4:5]
	s_add_u32 s4, s4, _ZN2at6native25elementwise_kernel_helperILb0EZZZNS0_12_GLOBAL__N_121bessel_y1_kernel_cudaERNS_18TensorIteratorBaseEENKUlvE_clEvENKUlvE0_clEvEUlfE_NS0_6memory8policies10vectorizedILi4ESt5arrayIPcLm2EELi4EEEEEvT0_T1_@rel32@lo+4
	s_addc_u32 s5, s5, _ZN2at6native25elementwise_kernel_helperILb0EZZZNS0_12_GLOBAL__N_121bessel_y1_kernel_cudaERNS_18TensorIteratorBaseEENKUlvE_clEvENKUlvE0_clEvEUlfE_NS0_6memory8policies10vectorizedILi4ESt5arrayIPcLm2EELi4EEEEEvT0_T1_@rel32@hi+12
	s_swappc_b64 s[30:31], s[4:5]
	s_cbranch_execnz .LBB14_2
.LBB14_4:
	v_mov_b32_e32 v31, v35
	v_mov_b32_e32 v0, s16
	;; [unrolled: 1-line block ×6, first 2 shown]
	s_getpc_b64 s[4:5]
	s_add_u32 s4, s4, _ZN2at6native25elementwise_kernel_helperILb0EZZZNS0_12_GLOBAL__N_121bessel_y1_kernel_cudaERNS_18TensorIteratorBaseEENKUlvE_clEvENKUlvE0_clEvEUlfE_NS0_6memory8policies11unroll_baseILi256ESt5arrayIPcLm2EE23TrivialOffsetCalculatorILi1EjESF_NS8_15LoadWithoutCastENS8_16StoreWithoutCastELi4ELi1EEEEEvT0_T1_@rel32@lo+4
	s_addc_u32 s5, s5, _ZN2at6native25elementwise_kernel_helperILb0EZZZNS0_12_GLOBAL__N_121bessel_y1_kernel_cudaERNS_18TensorIteratorBaseEENKUlvE_clEvENKUlvE0_clEvEUlfE_NS0_6memory8policies11unroll_baseILi256ESt5arrayIPcLm2EE23TrivialOffsetCalculatorILi1EjESF_NS8_15LoadWithoutCastENS8_16StoreWithoutCastELi4ELi1EEEEEvT0_T1_@rel32@hi+12
	s_swappc_b64 s[30:31], s[4:5]
	s_endpgm
	.section	.rodata,"a",@progbits
	.p2align	6, 0x0
	.amdhsa_kernel _ZN2at6native29vectorized_elementwise_kernelILi16EZZZNS0_12_GLOBAL__N_121bessel_y1_kernel_cudaERNS_18TensorIteratorBaseEENKUlvE_clEvENKUlvE0_clEvEUlfE_St5arrayIPcLm2EEEEviT0_T1_
		.amdhsa_group_segment_fixed_size 0
		.amdhsa_private_segment_fixed_size 0
		.amdhsa_kernarg_size 24
		.amdhsa_user_sgpr_count 6
		.amdhsa_user_sgpr_private_segment_buffer 1
		.amdhsa_user_sgpr_dispatch_ptr 0
		.amdhsa_user_sgpr_queue_ptr 0
		.amdhsa_user_sgpr_kernarg_segment_ptr 1
		.amdhsa_user_sgpr_dispatch_id 0
		.amdhsa_user_sgpr_flat_scratch_init 0
		.amdhsa_user_sgpr_private_segment_size 0
		.amdhsa_wavefront_size32 1
		.amdhsa_uses_dynamic_stack 0
		.amdhsa_system_sgpr_private_segment_wavefront_offset 0
		.amdhsa_system_sgpr_workgroup_id_x 1
		.amdhsa_system_sgpr_workgroup_id_y 0
		.amdhsa_system_sgpr_workgroup_id_z 0
		.amdhsa_system_sgpr_workgroup_info 0
		.amdhsa_system_vgpr_workitem_id 0
		.amdhsa_next_free_vgpr 40
		.amdhsa_next_free_sgpr 33
		.amdhsa_reserve_vcc 1
		.amdhsa_reserve_flat_scratch 0
		.amdhsa_float_round_mode_32 0
		.amdhsa_float_round_mode_16_64 0
		.amdhsa_float_denorm_mode_32 3
		.amdhsa_float_denorm_mode_16_64 3
		.amdhsa_dx10_clamp 1
		.amdhsa_ieee_mode 1
		.amdhsa_fp16_overflow 0
		.amdhsa_workgroup_processor_mode 1
		.amdhsa_memory_ordered 1
		.amdhsa_forward_progress 1
		.amdhsa_shared_vgpr_count 0
		.amdhsa_exception_fp_ieee_invalid_op 0
		.amdhsa_exception_fp_denorm_src 0
		.amdhsa_exception_fp_ieee_div_zero 0
		.amdhsa_exception_fp_ieee_overflow 0
		.amdhsa_exception_fp_ieee_underflow 0
		.amdhsa_exception_fp_ieee_inexact 0
		.amdhsa_exception_int_div_zero 0
	.end_amdhsa_kernel
	.section	.text._ZN2at6native29vectorized_elementwise_kernelILi16EZZZNS0_12_GLOBAL__N_121bessel_y1_kernel_cudaERNS_18TensorIteratorBaseEENKUlvE_clEvENKUlvE0_clEvEUlfE_St5arrayIPcLm2EEEEviT0_T1_,"axG",@progbits,_ZN2at6native29vectorized_elementwise_kernelILi16EZZZNS0_12_GLOBAL__N_121bessel_y1_kernel_cudaERNS_18TensorIteratorBaseEENKUlvE_clEvENKUlvE0_clEvEUlfE_St5arrayIPcLm2EEEEviT0_T1_,comdat
.Lfunc_end14:
	.size	_ZN2at6native29vectorized_elementwise_kernelILi16EZZZNS0_12_GLOBAL__N_121bessel_y1_kernel_cudaERNS_18TensorIteratorBaseEENKUlvE_clEvENKUlvE0_clEvEUlfE_St5arrayIPcLm2EEEEviT0_T1_, .Lfunc_end14-_ZN2at6native29vectorized_elementwise_kernelILi16EZZZNS0_12_GLOBAL__N_121bessel_y1_kernel_cudaERNS_18TensorIteratorBaseEENKUlvE_clEvENKUlvE0_clEvEUlfE_St5arrayIPcLm2EEEEviT0_T1_
                                        ; -- End function
	.set _ZN2at6native29vectorized_elementwise_kernelILi16EZZZNS0_12_GLOBAL__N_121bessel_y1_kernel_cudaERNS_18TensorIteratorBaseEENKUlvE_clEvENKUlvE0_clEvEUlfE_St5arrayIPcLm2EEEEviT0_T1_.num_vgpr, max(36, .L_ZN2at6native25elementwise_kernel_helperILb0EZZZNS0_12_GLOBAL__N_121bessel_y1_kernel_cudaERNS_18TensorIteratorBaseEENKUlvE_clEvENKUlvE0_clEvEUlfE_NS0_6memory8policies10vectorizedILi4ESt5arrayIPcLm2EELi4EEEEEvT0_T1_.num_vgpr, .L_ZN2at6native25elementwise_kernel_helperILb0EZZZNS0_12_GLOBAL__N_121bessel_y1_kernel_cudaERNS_18TensorIteratorBaseEENKUlvE_clEvENKUlvE0_clEvEUlfE_NS0_6memory8policies11unroll_baseILi256ESt5arrayIPcLm2EE23TrivialOffsetCalculatorILi1EjESF_NS8_15LoadWithoutCastENS8_16StoreWithoutCastELi4ELi1EEEEEvT0_T1_.num_vgpr)
	.set _ZN2at6native29vectorized_elementwise_kernelILi16EZZZNS0_12_GLOBAL__N_121bessel_y1_kernel_cudaERNS_18TensorIteratorBaseEENKUlvE_clEvENKUlvE0_clEvEUlfE_St5arrayIPcLm2EEEEviT0_T1_.num_agpr, max(0, .L_ZN2at6native25elementwise_kernel_helperILb0EZZZNS0_12_GLOBAL__N_121bessel_y1_kernel_cudaERNS_18TensorIteratorBaseEENKUlvE_clEvENKUlvE0_clEvEUlfE_NS0_6memory8policies10vectorizedILi4ESt5arrayIPcLm2EELi4EEEEEvT0_T1_.num_agpr, .L_ZN2at6native25elementwise_kernel_helperILb0EZZZNS0_12_GLOBAL__N_121bessel_y1_kernel_cudaERNS_18TensorIteratorBaseEENKUlvE_clEvENKUlvE0_clEvEUlfE_NS0_6memory8policies11unroll_baseILi256ESt5arrayIPcLm2EE23TrivialOffsetCalculatorILi1EjESF_NS8_15LoadWithoutCastENS8_16StoreWithoutCastELi4ELi1EEEEEvT0_T1_.num_agpr)
	.set _ZN2at6native29vectorized_elementwise_kernelILi16EZZZNS0_12_GLOBAL__N_121bessel_y1_kernel_cudaERNS_18TensorIteratorBaseEENKUlvE_clEvENKUlvE0_clEvEUlfE_St5arrayIPcLm2EEEEviT0_T1_.numbered_sgpr, max(33, .L_ZN2at6native25elementwise_kernel_helperILb0EZZZNS0_12_GLOBAL__N_121bessel_y1_kernel_cudaERNS_18TensorIteratorBaseEENKUlvE_clEvENKUlvE0_clEvEUlfE_NS0_6memory8policies10vectorizedILi4ESt5arrayIPcLm2EELi4EEEEEvT0_T1_.numbered_sgpr, .L_ZN2at6native25elementwise_kernel_helperILb0EZZZNS0_12_GLOBAL__N_121bessel_y1_kernel_cudaERNS_18TensorIteratorBaseEENKUlvE_clEvENKUlvE0_clEvEUlfE_NS0_6memory8policies11unroll_baseILi256ESt5arrayIPcLm2EE23TrivialOffsetCalculatorILi1EjESF_NS8_15LoadWithoutCastENS8_16StoreWithoutCastELi4ELi1EEEEEvT0_T1_.numbered_sgpr)
	.set _ZN2at6native29vectorized_elementwise_kernelILi16EZZZNS0_12_GLOBAL__N_121bessel_y1_kernel_cudaERNS_18TensorIteratorBaseEENKUlvE_clEvENKUlvE0_clEvEUlfE_St5arrayIPcLm2EEEEviT0_T1_.num_named_barrier, max(0, .L_ZN2at6native25elementwise_kernel_helperILb0EZZZNS0_12_GLOBAL__N_121bessel_y1_kernel_cudaERNS_18TensorIteratorBaseEENKUlvE_clEvENKUlvE0_clEvEUlfE_NS0_6memory8policies10vectorizedILi4ESt5arrayIPcLm2EELi4EEEEEvT0_T1_.num_named_barrier, .L_ZN2at6native25elementwise_kernel_helperILb0EZZZNS0_12_GLOBAL__N_121bessel_y1_kernel_cudaERNS_18TensorIteratorBaseEENKUlvE_clEvENKUlvE0_clEvEUlfE_NS0_6memory8policies11unroll_baseILi256ESt5arrayIPcLm2EE23TrivialOffsetCalculatorILi1EjESF_NS8_15LoadWithoutCastENS8_16StoreWithoutCastELi4ELi1EEEEEvT0_T1_.num_named_barrier)
	.set _ZN2at6native29vectorized_elementwise_kernelILi16EZZZNS0_12_GLOBAL__N_121bessel_y1_kernel_cudaERNS_18TensorIteratorBaseEENKUlvE_clEvENKUlvE0_clEvEUlfE_St5arrayIPcLm2EEEEviT0_T1_.private_seg_size, 0+max(.L_ZN2at6native25elementwise_kernel_helperILb0EZZZNS0_12_GLOBAL__N_121bessel_y1_kernel_cudaERNS_18TensorIteratorBaseEENKUlvE_clEvENKUlvE0_clEvEUlfE_NS0_6memory8policies10vectorizedILi4ESt5arrayIPcLm2EELi4EEEEEvT0_T1_.private_seg_size, .L_ZN2at6native25elementwise_kernel_helperILb0EZZZNS0_12_GLOBAL__N_121bessel_y1_kernel_cudaERNS_18TensorIteratorBaseEENKUlvE_clEvENKUlvE0_clEvEUlfE_NS0_6memory8policies11unroll_baseILi256ESt5arrayIPcLm2EE23TrivialOffsetCalculatorILi1EjESF_NS8_15LoadWithoutCastENS8_16StoreWithoutCastELi4ELi1EEEEEvT0_T1_.private_seg_size)
	.set _ZN2at6native29vectorized_elementwise_kernelILi16EZZZNS0_12_GLOBAL__N_121bessel_y1_kernel_cudaERNS_18TensorIteratorBaseEENKUlvE_clEvENKUlvE0_clEvEUlfE_St5arrayIPcLm2EEEEviT0_T1_.uses_vcc, or(1, .L_ZN2at6native25elementwise_kernel_helperILb0EZZZNS0_12_GLOBAL__N_121bessel_y1_kernel_cudaERNS_18TensorIteratorBaseEENKUlvE_clEvENKUlvE0_clEvEUlfE_NS0_6memory8policies10vectorizedILi4ESt5arrayIPcLm2EELi4EEEEEvT0_T1_.uses_vcc, .L_ZN2at6native25elementwise_kernel_helperILb0EZZZNS0_12_GLOBAL__N_121bessel_y1_kernel_cudaERNS_18TensorIteratorBaseEENKUlvE_clEvENKUlvE0_clEvEUlfE_NS0_6memory8policies11unroll_baseILi256ESt5arrayIPcLm2EE23TrivialOffsetCalculatorILi1EjESF_NS8_15LoadWithoutCastENS8_16StoreWithoutCastELi4ELi1EEEEEvT0_T1_.uses_vcc)
	.set _ZN2at6native29vectorized_elementwise_kernelILi16EZZZNS0_12_GLOBAL__N_121bessel_y1_kernel_cudaERNS_18TensorIteratorBaseEENKUlvE_clEvENKUlvE0_clEvEUlfE_St5arrayIPcLm2EEEEviT0_T1_.uses_flat_scratch, or(0, .L_ZN2at6native25elementwise_kernel_helperILb0EZZZNS0_12_GLOBAL__N_121bessel_y1_kernel_cudaERNS_18TensorIteratorBaseEENKUlvE_clEvENKUlvE0_clEvEUlfE_NS0_6memory8policies10vectorizedILi4ESt5arrayIPcLm2EELi4EEEEEvT0_T1_.uses_flat_scratch, .L_ZN2at6native25elementwise_kernel_helperILb0EZZZNS0_12_GLOBAL__N_121bessel_y1_kernel_cudaERNS_18TensorIteratorBaseEENKUlvE_clEvENKUlvE0_clEvEUlfE_NS0_6memory8policies11unroll_baseILi256ESt5arrayIPcLm2EE23TrivialOffsetCalculatorILi1EjESF_NS8_15LoadWithoutCastENS8_16StoreWithoutCastELi4ELi1EEEEEvT0_T1_.uses_flat_scratch)
	.set _ZN2at6native29vectorized_elementwise_kernelILi16EZZZNS0_12_GLOBAL__N_121bessel_y1_kernel_cudaERNS_18TensorIteratorBaseEENKUlvE_clEvENKUlvE0_clEvEUlfE_St5arrayIPcLm2EEEEviT0_T1_.has_dyn_sized_stack, or(0, .L_ZN2at6native25elementwise_kernel_helperILb0EZZZNS0_12_GLOBAL__N_121bessel_y1_kernel_cudaERNS_18TensorIteratorBaseEENKUlvE_clEvENKUlvE0_clEvEUlfE_NS0_6memory8policies10vectorizedILi4ESt5arrayIPcLm2EELi4EEEEEvT0_T1_.has_dyn_sized_stack, .L_ZN2at6native25elementwise_kernel_helperILb0EZZZNS0_12_GLOBAL__N_121bessel_y1_kernel_cudaERNS_18TensorIteratorBaseEENKUlvE_clEvENKUlvE0_clEvEUlfE_NS0_6memory8policies11unroll_baseILi256ESt5arrayIPcLm2EE23TrivialOffsetCalculatorILi1EjESF_NS8_15LoadWithoutCastENS8_16StoreWithoutCastELi4ELi1EEEEEvT0_T1_.has_dyn_sized_stack)
	.set _ZN2at6native29vectorized_elementwise_kernelILi16EZZZNS0_12_GLOBAL__N_121bessel_y1_kernel_cudaERNS_18TensorIteratorBaseEENKUlvE_clEvENKUlvE0_clEvEUlfE_St5arrayIPcLm2EEEEviT0_T1_.has_recursion, or(0, .L_ZN2at6native25elementwise_kernel_helperILb0EZZZNS0_12_GLOBAL__N_121bessel_y1_kernel_cudaERNS_18TensorIteratorBaseEENKUlvE_clEvENKUlvE0_clEvEUlfE_NS0_6memory8policies10vectorizedILi4ESt5arrayIPcLm2EELi4EEEEEvT0_T1_.has_recursion, .L_ZN2at6native25elementwise_kernel_helperILb0EZZZNS0_12_GLOBAL__N_121bessel_y1_kernel_cudaERNS_18TensorIteratorBaseEENKUlvE_clEvENKUlvE0_clEvEUlfE_NS0_6memory8policies11unroll_baseILi256ESt5arrayIPcLm2EE23TrivialOffsetCalculatorILi1EjESF_NS8_15LoadWithoutCastENS8_16StoreWithoutCastELi4ELi1EEEEEvT0_T1_.has_recursion)
	.set _ZN2at6native29vectorized_elementwise_kernelILi16EZZZNS0_12_GLOBAL__N_121bessel_y1_kernel_cudaERNS_18TensorIteratorBaseEENKUlvE_clEvENKUlvE0_clEvEUlfE_St5arrayIPcLm2EEEEviT0_T1_.has_indirect_call, or(0, .L_ZN2at6native25elementwise_kernel_helperILb0EZZZNS0_12_GLOBAL__N_121bessel_y1_kernel_cudaERNS_18TensorIteratorBaseEENKUlvE_clEvENKUlvE0_clEvEUlfE_NS0_6memory8policies10vectorizedILi4ESt5arrayIPcLm2EELi4EEEEEvT0_T1_.has_indirect_call, .L_ZN2at6native25elementwise_kernel_helperILb0EZZZNS0_12_GLOBAL__N_121bessel_y1_kernel_cudaERNS_18TensorIteratorBaseEENKUlvE_clEvENKUlvE0_clEvEUlfE_NS0_6memory8policies11unroll_baseILi256ESt5arrayIPcLm2EE23TrivialOffsetCalculatorILi1EjESF_NS8_15LoadWithoutCastENS8_16StoreWithoutCastELi4ELi1EEEEEvT0_T1_.has_indirect_call)
	.section	.AMDGPU.csdata,"",@progbits
; Kernel info:
; codeLenInByte = 176
; TotalNumSgprs: 35
; NumVgprs: 40
; ScratchSize: 0
; MemoryBound: 0
; FloatMode: 240
; IeeeMode: 1
; LDSByteSize: 0 bytes/workgroup (compile time only)
; SGPRBlocks: 0
; VGPRBlocks: 4
; NumSGPRsForWavesPerEU: 35
; NumVGPRsForWavesPerEU: 40
; Occupancy: 16
; WaveLimiterHint : 0
; COMPUTE_PGM_RSRC2:SCRATCH_EN: 0
; COMPUTE_PGM_RSRC2:USER_SGPR: 6
; COMPUTE_PGM_RSRC2:TRAP_HANDLER: 0
; COMPUTE_PGM_RSRC2:TGID_X_EN: 1
; COMPUTE_PGM_RSRC2:TGID_Y_EN: 0
; COMPUTE_PGM_RSRC2:TGID_Z_EN: 0
; COMPUTE_PGM_RSRC2:TIDIG_COMP_CNT: 0
	.section	.text._ZN2at6native29vectorized_elementwise_kernelILi8EZZZNS0_12_GLOBAL__N_121bessel_y1_kernel_cudaERNS_18TensorIteratorBaseEENKUlvE_clEvENKUlvE0_clEvEUlfE_St5arrayIPcLm2EEEEviT0_T1_,"axG",@progbits,_ZN2at6native29vectorized_elementwise_kernelILi8EZZZNS0_12_GLOBAL__N_121bessel_y1_kernel_cudaERNS_18TensorIteratorBaseEENKUlvE_clEvENKUlvE0_clEvEUlfE_St5arrayIPcLm2EEEEviT0_T1_,comdat
	.globl	_ZN2at6native29vectorized_elementwise_kernelILi8EZZZNS0_12_GLOBAL__N_121bessel_y1_kernel_cudaERNS_18TensorIteratorBaseEENKUlvE_clEvENKUlvE0_clEvEUlfE_St5arrayIPcLm2EEEEviT0_T1_ ; -- Begin function _ZN2at6native29vectorized_elementwise_kernelILi8EZZZNS0_12_GLOBAL__N_121bessel_y1_kernel_cudaERNS_18TensorIteratorBaseEENKUlvE_clEvENKUlvE0_clEvEUlfE_St5arrayIPcLm2EEEEviT0_T1_
	.p2align	8
	.type	_ZN2at6native29vectorized_elementwise_kernelILi8EZZZNS0_12_GLOBAL__N_121bessel_y1_kernel_cudaERNS_18TensorIteratorBaseEENKUlvE_clEvENKUlvE0_clEvEUlfE_St5arrayIPcLm2EEEEviT0_T1_,@function
_ZN2at6native29vectorized_elementwise_kernelILi8EZZZNS0_12_GLOBAL__N_121bessel_y1_kernel_cudaERNS_18TensorIteratorBaseEENKUlvE_clEvENKUlvE0_clEvEUlfE_St5arrayIPcLm2EEEEviT0_T1_: ; @_ZN2at6native29vectorized_elementwise_kernelILi8EZZZNS0_12_GLOBAL__N_121bessel_y1_kernel_cudaERNS_18TensorIteratorBaseEENKUlvE_clEvENKUlvE0_clEvEUlfE_St5arrayIPcLm2EEEEviT0_T1_
; %bb.0:
	s_mov_b32 s12, s6
	s_clause 0x1
	s_load_dword s6, s[4:5], 0x0
	s_load_dwordx4 s[16:19], s[4:5], 0x8
	s_add_u32 s0, s0, s7
	s_addc_u32 s1, s1, 0
	s_lshl_b32 s4, s12, 10
	v_mov_b32_e32 v35, v0
	s_mov_b32 s32, 0
	s_waitcnt lgkmcnt(0)
	s_sub_i32 s13, s6, s4
	s_mov_b32 s4, -1
	s_cmpk_gt_i32 s13, 0x3ff
	s_cbranch_scc1 .LBB15_3
; %bb.1:
	s_andn2_b32 vcc_lo, exec_lo, s4
	s_cbranch_vccz .LBB15_4
.LBB15_2:
	s_endpgm
.LBB15_3:
	v_mov_b32_e32 v31, v35
	v_mov_b32_e32 v0, s16
	;; [unrolled: 1-line block ×5, first 2 shown]
	s_getpc_b64 s[4:5]
	s_add_u32 s4, s4, _ZN2at6native25elementwise_kernel_helperILb0EZZZNS0_12_GLOBAL__N_121bessel_y1_kernel_cudaERNS_18TensorIteratorBaseEENKUlvE_clEvENKUlvE0_clEvEUlfE_NS0_6memory8policies10vectorizedILi4ESt5arrayIPcLm2EELi4EEEEEvT0_T1_@rel32@lo+4
	s_addc_u32 s5, s5, _ZN2at6native25elementwise_kernel_helperILb0EZZZNS0_12_GLOBAL__N_121bessel_y1_kernel_cudaERNS_18TensorIteratorBaseEENKUlvE_clEvENKUlvE0_clEvEUlfE_NS0_6memory8policies10vectorizedILi4ESt5arrayIPcLm2EELi4EEEEEvT0_T1_@rel32@hi+12
	s_swappc_b64 s[30:31], s[4:5]
	s_cbranch_execnz .LBB15_2
.LBB15_4:
	v_mov_b32_e32 v31, v35
	v_mov_b32_e32 v0, s16
	;; [unrolled: 1-line block ×6, first 2 shown]
	s_getpc_b64 s[4:5]
	s_add_u32 s4, s4, _ZN2at6native25elementwise_kernel_helperILb0EZZZNS0_12_GLOBAL__N_121bessel_y1_kernel_cudaERNS_18TensorIteratorBaseEENKUlvE_clEvENKUlvE0_clEvEUlfE_NS0_6memory8policies11unroll_baseILi256ESt5arrayIPcLm2EE23TrivialOffsetCalculatorILi1EjESF_NS8_15LoadWithoutCastENS8_16StoreWithoutCastELi4ELi1EEEEEvT0_T1_@rel32@lo+4
	s_addc_u32 s5, s5, _ZN2at6native25elementwise_kernel_helperILb0EZZZNS0_12_GLOBAL__N_121bessel_y1_kernel_cudaERNS_18TensorIteratorBaseEENKUlvE_clEvENKUlvE0_clEvEUlfE_NS0_6memory8policies11unroll_baseILi256ESt5arrayIPcLm2EE23TrivialOffsetCalculatorILi1EjESF_NS8_15LoadWithoutCastENS8_16StoreWithoutCastELi4ELi1EEEEEvT0_T1_@rel32@hi+12
	s_swappc_b64 s[30:31], s[4:5]
	s_endpgm
	.section	.rodata,"a",@progbits
	.p2align	6, 0x0
	.amdhsa_kernel _ZN2at6native29vectorized_elementwise_kernelILi8EZZZNS0_12_GLOBAL__N_121bessel_y1_kernel_cudaERNS_18TensorIteratorBaseEENKUlvE_clEvENKUlvE0_clEvEUlfE_St5arrayIPcLm2EEEEviT0_T1_
		.amdhsa_group_segment_fixed_size 0
		.amdhsa_private_segment_fixed_size 0
		.amdhsa_kernarg_size 24
		.amdhsa_user_sgpr_count 6
		.amdhsa_user_sgpr_private_segment_buffer 1
		.amdhsa_user_sgpr_dispatch_ptr 0
		.amdhsa_user_sgpr_queue_ptr 0
		.amdhsa_user_sgpr_kernarg_segment_ptr 1
		.amdhsa_user_sgpr_dispatch_id 0
		.amdhsa_user_sgpr_flat_scratch_init 0
		.amdhsa_user_sgpr_private_segment_size 0
		.amdhsa_wavefront_size32 1
		.amdhsa_uses_dynamic_stack 0
		.amdhsa_system_sgpr_private_segment_wavefront_offset 0
		.amdhsa_system_sgpr_workgroup_id_x 1
		.amdhsa_system_sgpr_workgroup_id_y 0
		.amdhsa_system_sgpr_workgroup_id_z 0
		.amdhsa_system_sgpr_workgroup_info 0
		.amdhsa_system_vgpr_workitem_id 0
		.amdhsa_next_free_vgpr 40
		.amdhsa_next_free_sgpr 33
		.amdhsa_reserve_vcc 1
		.amdhsa_reserve_flat_scratch 0
		.amdhsa_float_round_mode_32 0
		.amdhsa_float_round_mode_16_64 0
		.amdhsa_float_denorm_mode_32 3
		.amdhsa_float_denorm_mode_16_64 3
		.amdhsa_dx10_clamp 1
		.amdhsa_ieee_mode 1
		.amdhsa_fp16_overflow 0
		.amdhsa_workgroup_processor_mode 1
		.amdhsa_memory_ordered 1
		.amdhsa_forward_progress 1
		.amdhsa_shared_vgpr_count 0
		.amdhsa_exception_fp_ieee_invalid_op 0
		.amdhsa_exception_fp_denorm_src 0
		.amdhsa_exception_fp_ieee_div_zero 0
		.amdhsa_exception_fp_ieee_overflow 0
		.amdhsa_exception_fp_ieee_underflow 0
		.amdhsa_exception_fp_ieee_inexact 0
		.amdhsa_exception_int_div_zero 0
	.end_amdhsa_kernel
	.section	.text._ZN2at6native29vectorized_elementwise_kernelILi8EZZZNS0_12_GLOBAL__N_121bessel_y1_kernel_cudaERNS_18TensorIteratorBaseEENKUlvE_clEvENKUlvE0_clEvEUlfE_St5arrayIPcLm2EEEEviT0_T1_,"axG",@progbits,_ZN2at6native29vectorized_elementwise_kernelILi8EZZZNS0_12_GLOBAL__N_121bessel_y1_kernel_cudaERNS_18TensorIteratorBaseEENKUlvE_clEvENKUlvE0_clEvEUlfE_St5arrayIPcLm2EEEEviT0_T1_,comdat
.Lfunc_end15:
	.size	_ZN2at6native29vectorized_elementwise_kernelILi8EZZZNS0_12_GLOBAL__N_121bessel_y1_kernel_cudaERNS_18TensorIteratorBaseEENKUlvE_clEvENKUlvE0_clEvEUlfE_St5arrayIPcLm2EEEEviT0_T1_, .Lfunc_end15-_ZN2at6native29vectorized_elementwise_kernelILi8EZZZNS0_12_GLOBAL__N_121bessel_y1_kernel_cudaERNS_18TensorIteratorBaseEENKUlvE_clEvENKUlvE0_clEvEUlfE_St5arrayIPcLm2EEEEviT0_T1_
                                        ; -- End function
	.set _ZN2at6native29vectorized_elementwise_kernelILi8EZZZNS0_12_GLOBAL__N_121bessel_y1_kernel_cudaERNS_18TensorIteratorBaseEENKUlvE_clEvENKUlvE0_clEvEUlfE_St5arrayIPcLm2EEEEviT0_T1_.num_vgpr, max(36, .L_ZN2at6native25elementwise_kernel_helperILb0EZZZNS0_12_GLOBAL__N_121bessel_y1_kernel_cudaERNS_18TensorIteratorBaseEENKUlvE_clEvENKUlvE0_clEvEUlfE_NS0_6memory8policies10vectorizedILi4ESt5arrayIPcLm2EELi4EEEEEvT0_T1_.num_vgpr, .L_ZN2at6native25elementwise_kernel_helperILb0EZZZNS0_12_GLOBAL__N_121bessel_y1_kernel_cudaERNS_18TensorIteratorBaseEENKUlvE_clEvENKUlvE0_clEvEUlfE_NS0_6memory8policies11unroll_baseILi256ESt5arrayIPcLm2EE23TrivialOffsetCalculatorILi1EjESF_NS8_15LoadWithoutCastENS8_16StoreWithoutCastELi4ELi1EEEEEvT0_T1_.num_vgpr)
	.set _ZN2at6native29vectorized_elementwise_kernelILi8EZZZNS0_12_GLOBAL__N_121bessel_y1_kernel_cudaERNS_18TensorIteratorBaseEENKUlvE_clEvENKUlvE0_clEvEUlfE_St5arrayIPcLm2EEEEviT0_T1_.num_agpr, max(0, .L_ZN2at6native25elementwise_kernel_helperILb0EZZZNS0_12_GLOBAL__N_121bessel_y1_kernel_cudaERNS_18TensorIteratorBaseEENKUlvE_clEvENKUlvE0_clEvEUlfE_NS0_6memory8policies10vectorizedILi4ESt5arrayIPcLm2EELi4EEEEEvT0_T1_.num_agpr, .L_ZN2at6native25elementwise_kernel_helperILb0EZZZNS0_12_GLOBAL__N_121bessel_y1_kernel_cudaERNS_18TensorIteratorBaseEENKUlvE_clEvENKUlvE0_clEvEUlfE_NS0_6memory8policies11unroll_baseILi256ESt5arrayIPcLm2EE23TrivialOffsetCalculatorILi1EjESF_NS8_15LoadWithoutCastENS8_16StoreWithoutCastELi4ELi1EEEEEvT0_T1_.num_agpr)
	.set _ZN2at6native29vectorized_elementwise_kernelILi8EZZZNS0_12_GLOBAL__N_121bessel_y1_kernel_cudaERNS_18TensorIteratorBaseEENKUlvE_clEvENKUlvE0_clEvEUlfE_St5arrayIPcLm2EEEEviT0_T1_.numbered_sgpr, max(33, .L_ZN2at6native25elementwise_kernel_helperILb0EZZZNS0_12_GLOBAL__N_121bessel_y1_kernel_cudaERNS_18TensorIteratorBaseEENKUlvE_clEvENKUlvE0_clEvEUlfE_NS0_6memory8policies10vectorizedILi4ESt5arrayIPcLm2EELi4EEEEEvT0_T1_.numbered_sgpr, .L_ZN2at6native25elementwise_kernel_helperILb0EZZZNS0_12_GLOBAL__N_121bessel_y1_kernel_cudaERNS_18TensorIteratorBaseEENKUlvE_clEvENKUlvE0_clEvEUlfE_NS0_6memory8policies11unroll_baseILi256ESt5arrayIPcLm2EE23TrivialOffsetCalculatorILi1EjESF_NS8_15LoadWithoutCastENS8_16StoreWithoutCastELi4ELi1EEEEEvT0_T1_.numbered_sgpr)
	.set _ZN2at6native29vectorized_elementwise_kernelILi8EZZZNS0_12_GLOBAL__N_121bessel_y1_kernel_cudaERNS_18TensorIteratorBaseEENKUlvE_clEvENKUlvE0_clEvEUlfE_St5arrayIPcLm2EEEEviT0_T1_.num_named_barrier, max(0, .L_ZN2at6native25elementwise_kernel_helperILb0EZZZNS0_12_GLOBAL__N_121bessel_y1_kernel_cudaERNS_18TensorIteratorBaseEENKUlvE_clEvENKUlvE0_clEvEUlfE_NS0_6memory8policies10vectorizedILi4ESt5arrayIPcLm2EELi4EEEEEvT0_T1_.num_named_barrier, .L_ZN2at6native25elementwise_kernel_helperILb0EZZZNS0_12_GLOBAL__N_121bessel_y1_kernel_cudaERNS_18TensorIteratorBaseEENKUlvE_clEvENKUlvE0_clEvEUlfE_NS0_6memory8policies11unroll_baseILi256ESt5arrayIPcLm2EE23TrivialOffsetCalculatorILi1EjESF_NS8_15LoadWithoutCastENS8_16StoreWithoutCastELi4ELi1EEEEEvT0_T1_.num_named_barrier)
	.set _ZN2at6native29vectorized_elementwise_kernelILi8EZZZNS0_12_GLOBAL__N_121bessel_y1_kernel_cudaERNS_18TensorIteratorBaseEENKUlvE_clEvENKUlvE0_clEvEUlfE_St5arrayIPcLm2EEEEviT0_T1_.private_seg_size, 0+max(.L_ZN2at6native25elementwise_kernel_helperILb0EZZZNS0_12_GLOBAL__N_121bessel_y1_kernel_cudaERNS_18TensorIteratorBaseEENKUlvE_clEvENKUlvE0_clEvEUlfE_NS0_6memory8policies10vectorizedILi4ESt5arrayIPcLm2EELi4EEEEEvT0_T1_.private_seg_size, .L_ZN2at6native25elementwise_kernel_helperILb0EZZZNS0_12_GLOBAL__N_121bessel_y1_kernel_cudaERNS_18TensorIteratorBaseEENKUlvE_clEvENKUlvE0_clEvEUlfE_NS0_6memory8policies11unroll_baseILi256ESt5arrayIPcLm2EE23TrivialOffsetCalculatorILi1EjESF_NS8_15LoadWithoutCastENS8_16StoreWithoutCastELi4ELi1EEEEEvT0_T1_.private_seg_size)
	.set _ZN2at6native29vectorized_elementwise_kernelILi8EZZZNS0_12_GLOBAL__N_121bessel_y1_kernel_cudaERNS_18TensorIteratorBaseEENKUlvE_clEvENKUlvE0_clEvEUlfE_St5arrayIPcLm2EEEEviT0_T1_.uses_vcc, or(1, .L_ZN2at6native25elementwise_kernel_helperILb0EZZZNS0_12_GLOBAL__N_121bessel_y1_kernel_cudaERNS_18TensorIteratorBaseEENKUlvE_clEvENKUlvE0_clEvEUlfE_NS0_6memory8policies10vectorizedILi4ESt5arrayIPcLm2EELi4EEEEEvT0_T1_.uses_vcc, .L_ZN2at6native25elementwise_kernel_helperILb0EZZZNS0_12_GLOBAL__N_121bessel_y1_kernel_cudaERNS_18TensorIteratorBaseEENKUlvE_clEvENKUlvE0_clEvEUlfE_NS0_6memory8policies11unroll_baseILi256ESt5arrayIPcLm2EE23TrivialOffsetCalculatorILi1EjESF_NS8_15LoadWithoutCastENS8_16StoreWithoutCastELi4ELi1EEEEEvT0_T1_.uses_vcc)
	.set _ZN2at6native29vectorized_elementwise_kernelILi8EZZZNS0_12_GLOBAL__N_121bessel_y1_kernel_cudaERNS_18TensorIteratorBaseEENKUlvE_clEvENKUlvE0_clEvEUlfE_St5arrayIPcLm2EEEEviT0_T1_.uses_flat_scratch, or(0, .L_ZN2at6native25elementwise_kernel_helperILb0EZZZNS0_12_GLOBAL__N_121bessel_y1_kernel_cudaERNS_18TensorIteratorBaseEENKUlvE_clEvENKUlvE0_clEvEUlfE_NS0_6memory8policies10vectorizedILi4ESt5arrayIPcLm2EELi4EEEEEvT0_T1_.uses_flat_scratch, .L_ZN2at6native25elementwise_kernel_helperILb0EZZZNS0_12_GLOBAL__N_121bessel_y1_kernel_cudaERNS_18TensorIteratorBaseEENKUlvE_clEvENKUlvE0_clEvEUlfE_NS0_6memory8policies11unroll_baseILi256ESt5arrayIPcLm2EE23TrivialOffsetCalculatorILi1EjESF_NS8_15LoadWithoutCastENS8_16StoreWithoutCastELi4ELi1EEEEEvT0_T1_.uses_flat_scratch)
	.set _ZN2at6native29vectorized_elementwise_kernelILi8EZZZNS0_12_GLOBAL__N_121bessel_y1_kernel_cudaERNS_18TensorIteratorBaseEENKUlvE_clEvENKUlvE0_clEvEUlfE_St5arrayIPcLm2EEEEviT0_T1_.has_dyn_sized_stack, or(0, .L_ZN2at6native25elementwise_kernel_helperILb0EZZZNS0_12_GLOBAL__N_121bessel_y1_kernel_cudaERNS_18TensorIteratorBaseEENKUlvE_clEvENKUlvE0_clEvEUlfE_NS0_6memory8policies10vectorizedILi4ESt5arrayIPcLm2EELi4EEEEEvT0_T1_.has_dyn_sized_stack, .L_ZN2at6native25elementwise_kernel_helperILb0EZZZNS0_12_GLOBAL__N_121bessel_y1_kernel_cudaERNS_18TensorIteratorBaseEENKUlvE_clEvENKUlvE0_clEvEUlfE_NS0_6memory8policies11unroll_baseILi256ESt5arrayIPcLm2EE23TrivialOffsetCalculatorILi1EjESF_NS8_15LoadWithoutCastENS8_16StoreWithoutCastELi4ELi1EEEEEvT0_T1_.has_dyn_sized_stack)
	.set _ZN2at6native29vectorized_elementwise_kernelILi8EZZZNS0_12_GLOBAL__N_121bessel_y1_kernel_cudaERNS_18TensorIteratorBaseEENKUlvE_clEvENKUlvE0_clEvEUlfE_St5arrayIPcLm2EEEEviT0_T1_.has_recursion, or(0, .L_ZN2at6native25elementwise_kernel_helperILb0EZZZNS0_12_GLOBAL__N_121bessel_y1_kernel_cudaERNS_18TensorIteratorBaseEENKUlvE_clEvENKUlvE0_clEvEUlfE_NS0_6memory8policies10vectorizedILi4ESt5arrayIPcLm2EELi4EEEEEvT0_T1_.has_recursion, .L_ZN2at6native25elementwise_kernel_helperILb0EZZZNS0_12_GLOBAL__N_121bessel_y1_kernel_cudaERNS_18TensorIteratorBaseEENKUlvE_clEvENKUlvE0_clEvEUlfE_NS0_6memory8policies11unroll_baseILi256ESt5arrayIPcLm2EE23TrivialOffsetCalculatorILi1EjESF_NS8_15LoadWithoutCastENS8_16StoreWithoutCastELi4ELi1EEEEEvT0_T1_.has_recursion)
	.set _ZN2at6native29vectorized_elementwise_kernelILi8EZZZNS0_12_GLOBAL__N_121bessel_y1_kernel_cudaERNS_18TensorIteratorBaseEENKUlvE_clEvENKUlvE0_clEvEUlfE_St5arrayIPcLm2EEEEviT0_T1_.has_indirect_call, or(0, .L_ZN2at6native25elementwise_kernel_helperILb0EZZZNS0_12_GLOBAL__N_121bessel_y1_kernel_cudaERNS_18TensorIteratorBaseEENKUlvE_clEvENKUlvE0_clEvEUlfE_NS0_6memory8policies10vectorizedILi4ESt5arrayIPcLm2EELi4EEEEEvT0_T1_.has_indirect_call, .L_ZN2at6native25elementwise_kernel_helperILb0EZZZNS0_12_GLOBAL__N_121bessel_y1_kernel_cudaERNS_18TensorIteratorBaseEENKUlvE_clEvENKUlvE0_clEvEUlfE_NS0_6memory8policies11unroll_baseILi256ESt5arrayIPcLm2EE23TrivialOffsetCalculatorILi1EjESF_NS8_15LoadWithoutCastENS8_16StoreWithoutCastELi4ELi1EEEEEvT0_T1_.has_indirect_call)
	.section	.AMDGPU.csdata,"",@progbits
; Kernel info:
; codeLenInByte = 176
; TotalNumSgprs: 35
; NumVgprs: 40
; ScratchSize: 0
; MemoryBound: 0
; FloatMode: 240
; IeeeMode: 1
; LDSByteSize: 0 bytes/workgroup (compile time only)
; SGPRBlocks: 0
; VGPRBlocks: 4
; NumSGPRsForWavesPerEU: 35
; NumVGPRsForWavesPerEU: 40
; Occupancy: 16
; WaveLimiterHint : 0
; COMPUTE_PGM_RSRC2:SCRATCH_EN: 0
; COMPUTE_PGM_RSRC2:USER_SGPR: 6
; COMPUTE_PGM_RSRC2:TRAP_HANDLER: 0
; COMPUTE_PGM_RSRC2:TGID_X_EN: 1
; COMPUTE_PGM_RSRC2:TGID_Y_EN: 0
; COMPUTE_PGM_RSRC2:TGID_Z_EN: 0
; COMPUTE_PGM_RSRC2:TIDIG_COMP_CNT: 0
	.section	.text._ZN2at6native29vectorized_elementwise_kernelILi4EZZZNS0_12_GLOBAL__N_121bessel_y1_kernel_cudaERNS_18TensorIteratorBaseEENKUlvE_clEvENKUlvE0_clEvEUlfE_St5arrayIPcLm2EEEEviT0_T1_,"axG",@progbits,_ZN2at6native29vectorized_elementwise_kernelILi4EZZZNS0_12_GLOBAL__N_121bessel_y1_kernel_cudaERNS_18TensorIteratorBaseEENKUlvE_clEvENKUlvE0_clEvEUlfE_St5arrayIPcLm2EEEEviT0_T1_,comdat
	.globl	_ZN2at6native29vectorized_elementwise_kernelILi4EZZZNS0_12_GLOBAL__N_121bessel_y1_kernel_cudaERNS_18TensorIteratorBaseEENKUlvE_clEvENKUlvE0_clEvEUlfE_St5arrayIPcLm2EEEEviT0_T1_ ; -- Begin function _ZN2at6native29vectorized_elementwise_kernelILi4EZZZNS0_12_GLOBAL__N_121bessel_y1_kernel_cudaERNS_18TensorIteratorBaseEENKUlvE_clEvENKUlvE0_clEvEUlfE_St5arrayIPcLm2EEEEviT0_T1_
	.p2align	8
	.type	_ZN2at6native29vectorized_elementwise_kernelILi4EZZZNS0_12_GLOBAL__N_121bessel_y1_kernel_cudaERNS_18TensorIteratorBaseEENKUlvE_clEvENKUlvE0_clEvEUlfE_St5arrayIPcLm2EEEEviT0_T1_,@function
_ZN2at6native29vectorized_elementwise_kernelILi4EZZZNS0_12_GLOBAL__N_121bessel_y1_kernel_cudaERNS_18TensorIteratorBaseEENKUlvE_clEvENKUlvE0_clEvEUlfE_St5arrayIPcLm2EEEEviT0_T1_: ; @_ZN2at6native29vectorized_elementwise_kernelILi4EZZZNS0_12_GLOBAL__N_121bessel_y1_kernel_cudaERNS_18TensorIteratorBaseEENKUlvE_clEvENKUlvE0_clEvEUlfE_St5arrayIPcLm2EEEEviT0_T1_
; %bb.0:
	s_mov_b32 s12, s6
	s_clause 0x1
	s_load_dword s6, s[4:5], 0x0
	s_load_dwordx4 s[16:19], s[4:5], 0x8
	s_add_u32 s0, s0, s7
	s_addc_u32 s1, s1, 0
	s_lshl_b32 s4, s12, 10
	v_mov_b32_e32 v35, v0
	s_mov_b32 s32, 0
	s_waitcnt lgkmcnt(0)
	s_sub_i32 s13, s6, s4
	s_mov_b32 s4, -1
	s_cmpk_gt_i32 s13, 0x3ff
	s_cbranch_scc1 .LBB16_3
; %bb.1:
	s_andn2_b32 vcc_lo, exec_lo, s4
	s_cbranch_vccz .LBB16_4
.LBB16_2:
	s_endpgm
.LBB16_3:
	v_mov_b32_e32 v31, v35
	v_mov_b32_e32 v0, s16
	;; [unrolled: 1-line block ×5, first 2 shown]
	s_getpc_b64 s[4:5]
	s_add_u32 s4, s4, _ZN2at6native25elementwise_kernel_helperILb0EZZZNS0_12_GLOBAL__N_121bessel_y1_kernel_cudaERNS_18TensorIteratorBaseEENKUlvE_clEvENKUlvE0_clEvEUlfE_NS0_6memory8policies10vectorizedILi4ESt5arrayIPcLm2EELi4EEEEEvT0_T1_@rel32@lo+4
	s_addc_u32 s5, s5, _ZN2at6native25elementwise_kernel_helperILb0EZZZNS0_12_GLOBAL__N_121bessel_y1_kernel_cudaERNS_18TensorIteratorBaseEENKUlvE_clEvENKUlvE0_clEvEUlfE_NS0_6memory8policies10vectorizedILi4ESt5arrayIPcLm2EELi4EEEEEvT0_T1_@rel32@hi+12
	s_swappc_b64 s[30:31], s[4:5]
	s_cbranch_execnz .LBB16_2
.LBB16_4:
	v_mov_b32_e32 v31, v35
	v_mov_b32_e32 v0, s16
	;; [unrolled: 1-line block ×6, first 2 shown]
	s_getpc_b64 s[4:5]
	s_add_u32 s4, s4, _ZN2at6native25elementwise_kernel_helperILb0EZZZNS0_12_GLOBAL__N_121bessel_y1_kernel_cudaERNS_18TensorIteratorBaseEENKUlvE_clEvENKUlvE0_clEvEUlfE_NS0_6memory8policies11unroll_baseILi256ESt5arrayIPcLm2EE23TrivialOffsetCalculatorILi1EjESF_NS8_15LoadWithoutCastENS8_16StoreWithoutCastELi4ELi1EEEEEvT0_T1_@rel32@lo+4
	s_addc_u32 s5, s5, _ZN2at6native25elementwise_kernel_helperILb0EZZZNS0_12_GLOBAL__N_121bessel_y1_kernel_cudaERNS_18TensorIteratorBaseEENKUlvE_clEvENKUlvE0_clEvEUlfE_NS0_6memory8policies11unroll_baseILi256ESt5arrayIPcLm2EE23TrivialOffsetCalculatorILi1EjESF_NS8_15LoadWithoutCastENS8_16StoreWithoutCastELi4ELi1EEEEEvT0_T1_@rel32@hi+12
	s_swappc_b64 s[30:31], s[4:5]
	s_endpgm
	.section	.rodata,"a",@progbits
	.p2align	6, 0x0
	.amdhsa_kernel _ZN2at6native29vectorized_elementwise_kernelILi4EZZZNS0_12_GLOBAL__N_121bessel_y1_kernel_cudaERNS_18TensorIteratorBaseEENKUlvE_clEvENKUlvE0_clEvEUlfE_St5arrayIPcLm2EEEEviT0_T1_
		.amdhsa_group_segment_fixed_size 0
		.amdhsa_private_segment_fixed_size 0
		.amdhsa_kernarg_size 24
		.amdhsa_user_sgpr_count 6
		.amdhsa_user_sgpr_private_segment_buffer 1
		.amdhsa_user_sgpr_dispatch_ptr 0
		.amdhsa_user_sgpr_queue_ptr 0
		.amdhsa_user_sgpr_kernarg_segment_ptr 1
		.amdhsa_user_sgpr_dispatch_id 0
		.amdhsa_user_sgpr_flat_scratch_init 0
		.amdhsa_user_sgpr_private_segment_size 0
		.amdhsa_wavefront_size32 1
		.amdhsa_uses_dynamic_stack 0
		.amdhsa_system_sgpr_private_segment_wavefront_offset 0
		.amdhsa_system_sgpr_workgroup_id_x 1
		.amdhsa_system_sgpr_workgroup_id_y 0
		.amdhsa_system_sgpr_workgroup_id_z 0
		.amdhsa_system_sgpr_workgroup_info 0
		.amdhsa_system_vgpr_workitem_id 0
		.amdhsa_next_free_vgpr 40
		.amdhsa_next_free_sgpr 33
		.amdhsa_reserve_vcc 1
		.amdhsa_reserve_flat_scratch 0
		.amdhsa_float_round_mode_32 0
		.amdhsa_float_round_mode_16_64 0
		.amdhsa_float_denorm_mode_32 3
		.amdhsa_float_denorm_mode_16_64 3
		.amdhsa_dx10_clamp 1
		.amdhsa_ieee_mode 1
		.amdhsa_fp16_overflow 0
		.amdhsa_workgroup_processor_mode 1
		.amdhsa_memory_ordered 1
		.amdhsa_forward_progress 1
		.amdhsa_shared_vgpr_count 0
		.amdhsa_exception_fp_ieee_invalid_op 0
		.amdhsa_exception_fp_denorm_src 0
		.amdhsa_exception_fp_ieee_div_zero 0
		.amdhsa_exception_fp_ieee_overflow 0
		.amdhsa_exception_fp_ieee_underflow 0
		.amdhsa_exception_fp_ieee_inexact 0
		.amdhsa_exception_int_div_zero 0
	.end_amdhsa_kernel
	.section	.text._ZN2at6native29vectorized_elementwise_kernelILi4EZZZNS0_12_GLOBAL__N_121bessel_y1_kernel_cudaERNS_18TensorIteratorBaseEENKUlvE_clEvENKUlvE0_clEvEUlfE_St5arrayIPcLm2EEEEviT0_T1_,"axG",@progbits,_ZN2at6native29vectorized_elementwise_kernelILi4EZZZNS0_12_GLOBAL__N_121bessel_y1_kernel_cudaERNS_18TensorIteratorBaseEENKUlvE_clEvENKUlvE0_clEvEUlfE_St5arrayIPcLm2EEEEviT0_T1_,comdat
.Lfunc_end16:
	.size	_ZN2at6native29vectorized_elementwise_kernelILi4EZZZNS0_12_GLOBAL__N_121bessel_y1_kernel_cudaERNS_18TensorIteratorBaseEENKUlvE_clEvENKUlvE0_clEvEUlfE_St5arrayIPcLm2EEEEviT0_T1_, .Lfunc_end16-_ZN2at6native29vectorized_elementwise_kernelILi4EZZZNS0_12_GLOBAL__N_121bessel_y1_kernel_cudaERNS_18TensorIteratorBaseEENKUlvE_clEvENKUlvE0_clEvEUlfE_St5arrayIPcLm2EEEEviT0_T1_
                                        ; -- End function
	.set _ZN2at6native29vectorized_elementwise_kernelILi4EZZZNS0_12_GLOBAL__N_121bessel_y1_kernel_cudaERNS_18TensorIteratorBaseEENKUlvE_clEvENKUlvE0_clEvEUlfE_St5arrayIPcLm2EEEEviT0_T1_.num_vgpr, max(36, .L_ZN2at6native25elementwise_kernel_helperILb0EZZZNS0_12_GLOBAL__N_121bessel_y1_kernel_cudaERNS_18TensorIteratorBaseEENKUlvE_clEvENKUlvE0_clEvEUlfE_NS0_6memory8policies10vectorizedILi4ESt5arrayIPcLm2EELi4EEEEEvT0_T1_.num_vgpr, .L_ZN2at6native25elementwise_kernel_helperILb0EZZZNS0_12_GLOBAL__N_121bessel_y1_kernel_cudaERNS_18TensorIteratorBaseEENKUlvE_clEvENKUlvE0_clEvEUlfE_NS0_6memory8policies11unroll_baseILi256ESt5arrayIPcLm2EE23TrivialOffsetCalculatorILi1EjESF_NS8_15LoadWithoutCastENS8_16StoreWithoutCastELi4ELi1EEEEEvT0_T1_.num_vgpr)
	.set _ZN2at6native29vectorized_elementwise_kernelILi4EZZZNS0_12_GLOBAL__N_121bessel_y1_kernel_cudaERNS_18TensorIteratorBaseEENKUlvE_clEvENKUlvE0_clEvEUlfE_St5arrayIPcLm2EEEEviT0_T1_.num_agpr, max(0, .L_ZN2at6native25elementwise_kernel_helperILb0EZZZNS0_12_GLOBAL__N_121bessel_y1_kernel_cudaERNS_18TensorIteratorBaseEENKUlvE_clEvENKUlvE0_clEvEUlfE_NS0_6memory8policies10vectorizedILi4ESt5arrayIPcLm2EELi4EEEEEvT0_T1_.num_agpr, .L_ZN2at6native25elementwise_kernel_helperILb0EZZZNS0_12_GLOBAL__N_121bessel_y1_kernel_cudaERNS_18TensorIteratorBaseEENKUlvE_clEvENKUlvE0_clEvEUlfE_NS0_6memory8policies11unroll_baseILi256ESt5arrayIPcLm2EE23TrivialOffsetCalculatorILi1EjESF_NS8_15LoadWithoutCastENS8_16StoreWithoutCastELi4ELi1EEEEEvT0_T1_.num_agpr)
	.set _ZN2at6native29vectorized_elementwise_kernelILi4EZZZNS0_12_GLOBAL__N_121bessel_y1_kernel_cudaERNS_18TensorIteratorBaseEENKUlvE_clEvENKUlvE0_clEvEUlfE_St5arrayIPcLm2EEEEviT0_T1_.numbered_sgpr, max(33, .L_ZN2at6native25elementwise_kernel_helperILb0EZZZNS0_12_GLOBAL__N_121bessel_y1_kernel_cudaERNS_18TensorIteratorBaseEENKUlvE_clEvENKUlvE0_clEvEUlfE_NS0_6memory8policies10vectorizedILi4ESt5arrayIPcLm2EELi4EEEEEvT0_T1_.numbered_sgpr, .L_ZN2at6native25elementwise_kernel_helperILb0EZZZNS0_12_GLOBAL__N_121bessel_y1_kernel_cudaERNS_18TensorIteratorBaseEENKUlvE_clEvENKUlvE0_clEvEUlfE_NS0_6memory8policies11unroll_baseILi256ESt5arrayIPcLm2EE23TrivialOffsetCalculatorILi1EjESF_NS8_15LoadWithoutCastENS8_16StoreWithoutCastELi4ELi1EEEEEvT0_T1_.numbered_sgpr)
	.set _ZN2at6native29vectorized_elementwise_kernelILi4EZZZNS0_12_GLOBAL__N_121bessel_y1_kernel_cudaERNS_18TensorIteratorBaseEENKUlvE_clEvENKUlvE0_clEvEUlfE_St5arrayIPcLm2EEEEviT0_T1_.num_named_barrier, max(0, .L_ZN2at6native25elementwise_kernel_helperILb0EZZZNS0_12_GLOBAL__N_121bessel_y1_kernel_cudaERNS_18TensorIteratorBaseEENKUlvE_clEvENKUlvE0_clEvEUlfE_NS0_6memory8policies10vectorizedILi4ESt5arrayIPcLm2EELi4EEEEEvT0_T1_.num_named_barrier, .L_ZN2at6native25elementwise_kernel_helperILb0EZZZNS0_12_GLOBAL__N_121bessel_y1_kernel_cudaERNS_18TensorIteratorBaseEENKUlvE_clEvENKUlvE0_clEvEUlfE_NS0_6memory8policies11unroll_baseILi256ESt5arrayIPcLm2EE23TrivialOffsetCalculatorILi1EjESF_NS8_15LoadWithoutCastENS8_16StoreWithoutCastELi4ELi1EEEEEvT0_T1_.num_named_barrier)
	.set _ZN2at6native29vectorized_elementwise_kernelILi4EZZZNS0_12_GLOBAL__N_121bessel_y1_kernel_cudaERNS_18TensorIteratorBaseEENKUlvE_clEvENKUlvE0_clEvEUlfE_St5arrayIPcLm2EEEEviT0_T1_.private_seg_size, 0+max(.L_ZN2at6native25elementwise_kernel_helperILb0EZZZNS0_12_GLOBAL__N_121bessel_y1_kernel_cudaERNS_18TensorIteratorBaseEENKUlvE_clEvENKUlvE0_clEvEUlfE_NS0_6memory8policies10vectorizedILi4ESt5arrayIPcLm2EELi4EEEEEvT0_T1_.private_seg_size, .L_ZN2at6native25elementwise_kernel_helperILb0EZZZNS0_12_GLOBAL__N_121bessel_y1_kernel_cudaERNS_18TensorIteratorBaseEENKUlvE_clEvENKUlvE0_clEvEUlfE_NS0_6memory8policies11unroll_baseILi256ESt5arrayIPcLm2EE23TrivialOffsetCalculatorILi1EjESF_NS8_15LoadWithoutCastENS8_16StoreWithoutCastELi4ELi1EEEEEvT0_T1_.private_seg_size)
	.set _ZN2at6native29vectorized_elementwise_kernelILi4EZZZNS0_12_GLOBAL__N_121bessel_y1_kernel_cudaERNS_18TensorIteratorBaseEENKUlvE_clEvENKUlvE0_clEvEUlfE_St5arrayIPcLm2EEEEviT0_T1_.uses_vcc, or(1, .L_ZN2at6native25elementwise_kernel_helperILb0EZZZNS0_12_GLOBAL__N_121bessel_y1_kernel_cudaERNS_18TensorIteratorBaseEENKUlvE_clEvENKUlvE0_clEvEUlfE_NS0_6memory8policies10vectorizedILi4ESt5arrayIPcLm2EELi4EEEEEvT0_T1_.uses_vcc, .L_ZN2at6native25elementwise_kernel_helperILb0EZZZNS0_12_GLOBAL__N_121bessel_y1_kernel_cudaERNS_18TensorIteratorBaseEENKUlvE_clEvENKUlvE0_clEvEUlfE_NS0_6memory8policies11unroll_baseILi256ESt5arrayIPcLm2EE23TrivialOffsetCalculatorILi1EjESF_NS8_15LoadWithoutCastENS8_16StoreWithoutCastELi4ELi1EEEEEvT0_T1_.uses_vcc)
	.set _ZN2at6native29vectorized_elementwise_kernelILi4EZZZNS0_12_GLOBAL__N_121bessel_y1_kernel_cudaERNS_18TensorIteratorBaseEENKUlvE_clEvENKUlvE0_clEvEUlfE_St5arrayIPcLm2EEEEviT0_T1_.uses_flat_scratch, or(0, .L_ZN2at6native25elementwise_kernel_helperILb0EZZZNS0_12_GLOBAL__N_121bessel_y1_kernel_cudaERNS_18TensorIteratorBaseEENKUlvE_clEvENKUlvE0_clEvEUlfE_NS0_6memory8policies10vectorizedILi4ESt5arrayIPcLm2EELi4EEEEEvT0_T1_.uses_flat_scratch, .L_ZN2at6native25elementwise_kernel_helperILb0EZZZNS0_12_GLOBAL__N_121bessel_y1_kernel_cudaERNS_18TensorIteratorBaseEENKUlvE_clEvENKUlvE0_clEvEUlfE_NS0_6memory8policies11unroll_baseILi256ESt5arrayIPcLm2EE23TrivialOffsetCalculatorILi1EjESF_NS8_15LoadWithoutCastENS8_16StoreWithoutCastELi4ELi1EEEEEvT0_T1_.uses_flat_scratch)
	.set _ZN2at6native29vectorized_elementwise_kernelILi4EZZZNS0_12_GLOBAL__N_121bessel_y1_kernel_cudaERNS_18TensorIteratorBaseEENKUlvE_clEvENKUlvE0_clEvEUlfE_St5arrayIPcLm2EEEEviT0_T1_.has_dyn_sized_stack, or(0, .L_ZN2at6native25elementwise_kernel_helperILb0EZZZNS0_12_GLOBAL__N_121bessel_y1_kernel_cudaERNS_18TensorIteratorBaseEENKUlvE_clEvENKUlvE0_clEvEUlfE_NS0_6memory8policies10vectorizedILi4ESt5arrayIPcLm2EELi4EEEEEvT0_T1_.has_dyn_sized_stack, .L_ZN2at6native25elementwise_kernel_helperILb0EZZZNS0_12_GLOBAL__N_121bessel_y1_kernel_cudaERNS_18TensorIteratorBaseEENKUlvE_clEvENKUlvE0_clEvEUlfE_NS0_6memory8policies11unroll_baseILi256ESt5arrayIPcLm2EE23TrivialOffsetCalculatorILi1EjESF_NS8_15LoadWithoutCastENS8_16StoreWithoutCastELi4ELi1EEEEEvT0_T1_.has_dyn_sized_stack)
	.set _ZN2at6native29vectorized_elementwise_kernelILi4EZZZNS0_12_GLOBAL__N_121bessel_y1_kernel_cudaERNS_18TensorIteratorBaseEENKUlvE_clEvENKUlvE0_clEvEUlfE_St5arrayIPcLm2EEEEviT0_T1_.has_recursion, or(0, .L_ZN2at6native25elementwise_kernel_helperILb0EZZZNS0_12_GLOBAL__N_121bessel_y1_kernel_cudaERNS_18TensorIteratorBaseEENKUlvE_clEvENKUlvE0_clEvEUlfE_NS0_6memory8policies10vectorizedILi4ESt5arrayIPcLm2EELi4EEEEEvT0_T1_.has_recursion, .L_ZN2at6native25elementwise_kernel_helperILb0EZZZNS0_12_GLOBAL__N_121bessel_y1_kernel_cudaERNS_18TensorIteratorBaseEENKUlvE_clEvENKUlvE0_clEvEUlfE_NS0_6memory8policies11unroll_baseILi256ESt5arrayIPcLm2EE23TrivialOffsetCalculatorILi1EjESF_NS8_15LoadWithoutCastENS8_16StoreWithoutCastELi4ELi1EEEEEvT0_T1_.has_recursion)
	.set _ZN2at6native29vectorized_elementwise_kernelILi4EZZZNS0_12_GLOBAL__N_121bessel_y1_kernel_cudaERNS_18TensorIteratorBaseEENKUlvE_clEvENKUlvE0_clEvEUlfE_St5arrayIPcLm2EEEEviT0_T1_.has_indirect_call, or(0, .L_ZN2at6native25elementwise_kernel_helperILb0EZZZNS0_12_GLOBAL__N_121bessel_y1_kernel_cudaERNS_18TensorIteratorBaseEENKUlvE_clEvENKUlvE0_clEvEUlfE_NS0_6memory8policies10vectorizedILi4ESt5arrayIPcLm2EELi4EEEEEvT0_T1_.has_indirect_call, .L_ZN2at6native25elementwise_kernel_helperILb0EZZZNS0_12_GLOBAL__N_121bessel_y1_kernel_cudaERNS_18TensorIteratorBaseEENKUlvE_clEvENKUlvE0_clEvEUlfE_NS0_6memory8policies11unroll_baseILi256ESt5arrayIPcLm2EE23TrivialOffsetCalculatorILi1EjESF_NS8_15LoadWithoutCastENS8_16StoreWithoutCastELi4ELi1EEEEEvT0_T1_.has_indirect_call)
	.section	.AMDGPU.csdata,"",@progbits
; Kernel info:
; codeLenInByte = 176
; TotalNumSgprs: 35
; NumVgprs: 40
; ScratchSize: 0
; MemoryBound: 0
; FloatMode: 240
; IeeeMode: 1
; LDSByteSize: 0 bytes/workgroup (compile time only)
; SGPRBlocks: 0
; VGPRBlocks: 4
; NumSGPRsForWavesPerEU: 35
; NumVGPRsForWavesPerEU: 40
; Occupancy: 16
; WaveLimiterHint : 0
; COMPUTE_PGM_RSRC2:SCRATCH_EN: 0
; COMPUTE_PGM_RSRC2:USER_SGPR: 6
; COMPUTE_PGM_RSRC2:TRAP_HANDLER: 0
; COMPUTE_PGM_RSRC2:TGID_X_EN: 1
; COMPUTE_PGM_RSRC2:TGID_Y_EN: 0
; COMPUTE_PGM_RSRC2:TGID_Z_EN: 0
; COMPUTE_PGM_RSRC2:TIDIG_COMP_CNT: 0
	.section	.text._ZN2at6native29vectorized_elementwise_kernelILi2EZZZNS0_12_GLOBAL__N_121bessel_y1_kernel_cudaERNS_18TensorIteratorBaseEENKUlvE_clEvENKUlvE0_clEvEUlfE_St5arrayIPcLm2EEEEviT0_T1_,"axG",@progbits,_ZN2at6native29vectorized_elementwise_kernelILi2EZZZNS0_12_GLOBAL__N_121bessel_y1_kernel_cudaERNS_18TensorIteratorBaseEENKUlvE_clEvENKUlvE0_clEvEUlfE_St5arrayIPcLm2EEEEviT0_T1_,comdat
	.globl	_ZN2at6native29vectorized_elementwise_kernelILi2EZZZNS0_12_GLOBAL__N_121bessel_y1_kernel_cudaERNS_18TensorIteratorBaseEENKUlvE_clEvENKUlvE0_clEvEUlfE_St5arrayIPcLm2EEEEviT0_T1_ ; -- Begin function _ZN2at6native29vectorized_elementwise_kernelILi2EZZZNS0_12_GLOBAL__N_121bessel_y1_kernel_cudaERNS_18TensorIteratorBaseEENKUlvE_clEvENKUlvE0_clEvEUlfE_St5arrayIPcLm2EEEEviT0_T1_
	.p2align	8
	.type	_ZN2at6native29vectorized_elementwise_kernelILi2EZZZNS0_12_GLOBAL__N_121bessel_y1_kernel_cudaERNS_18TensorIteratorBaseEENKUlvE_clEvENKUlvE0_clEvEUlfE_St5arrayIPcLm2EEEEviT0_T1_,@function
_ZN2at6native29vectorized_elementwise_kernelILi2EZZZNS0_12_GLOBAL__N_121bessel_y1_kernel_cudaERNS_18TensorIteratorBaseEENKUlvE_clEvENKUlvE0_clEvEUlfE_St5arrayIPcLm2EEEEviT0_T1_: ; @_ZN2at6native29vectorized_elementwise_kernelILi2EZZZNS0_12_GLOBAL__N_121bessel_y1_kernel_cudaERNS_18TensorIteratorBaseEENKUlvE_clEvENKUlvE0_clEvEUlfE_St5arrayIPcLm2EEEEviT0_T1_
; %bb.0:
	s_add_u32 s0, s0, s7
	s_clause 0x1
	s_load_dword s7, s[4:5], 0x0
	s_load_dwordx4 s[8:11], s[4:5], 0x8
	s_addc_u32 s1, s1, 0
	s_lshl_b32 s4, s6, 10
	s_mov_b32 s5, -1
	s_mov_b32 s32, 0
	s_waitcnt lgkmcnt(0)
	s_sub_i32 s14, s7, s4
	s_cmpk_gt_i32 s14, 0x3ff
	s_cbranch_scc0 .LBB17_10
; %bb.1:
	s_ashr_i32 s5, s4, 31
	v_lshlrev_b32_e32 v7, 3, v0
	s_lshl_b64 s[12:13], s[4:5], 2
                                        ; implicit-def: $vgpr3
	s_add_u32 s4, s10, s12
	s_addc_u32 s5, s11, s13
	v_add_co_u32 v1, s7, s4, v7
	v_add_co_ci_u32_e64 v2, null, s5, 0, s7
	v_add_co_u32 v1, vcc_lo, 0x800, v1
	v_add_co_ci_u32_e64 v2, null, 0, v2, vcc_lo
	s_clause 0x1
	global_load_dwordx2 v[5:6], v7, s[4:5]
	global_load_dwordx2 v[1:2], v[1:2], off
	s_mov_b32 s4, exec_lo
	s_waitcnt vmcnt(1)
	v_cmpx_ge_f32_e32 0x40a00000, v5
	s_xor_b32 s15, exec_lo, s4
	s_cbranch_execz .LBB17_7
; %bb.2:
	v_mov_b32_e32 v3, 0xff800000
	s_mov_b32 s16, exec_lo
	v_cmpx_neq_f32_e32 0, v5
	s_cbranch_execz .LBB17_6
; %bb.3:
	v_mov_b32_e32 v3, 0x7fc00000
	s_mov_b32 s17, exec_lo
	v_cmpx_nge_f32_e32 0, v5
	s_cbranch_execz .LBB17_5
; %bb.4:
	v_mul_f32_e32 v3, v5, v5
	v_cmp_gt_f32_e64 s4, 0x800000, v5
	v_div_scale_f32 v15, null, v5, v5, -1.0
	v_div_scale_f32 v24, s7, -1.0, v5, -1.0
	v_fmaak_f32 v4, 0, v3, 0x4414934d
	v_fmaak_f32 v8, 0, v3, 0x441b3589
	;; [unrolled: 1-line block ×4, first 2 shown]
	v_cndmask_b32_e64 v14, 0, 32, s4
	v_fmaak_f32 v4, v3, v4, 0x48660b06
	v_fmaak_f32 v8, v3, v8, 0x487af6d0
	;; [unrolled: 1-line block ×4, first 2 shown]
	v_rcp_f32_e32 v16, v15
	v_fmaak_f32 v4, v3, v4, 0x4c8c277d
	v_fmaak_f32 v8, v3, v8, 0x4c9f4aa7
	;; [unrolled: 1-line block ×4, first 2 shown]
	v_ldexp_f32 v14, v5, v14
	v_fmaak_f32 v4, v3, v4, 0x508bc61d
	v_fmaak_f32 v8, v3, v8, 0x50a509fc
	;; [unrolled: 1-line block ×4, first 2 shown]
	v_log_f32_e32 v14, v14
	v_fmaak_f32 v4, v3, v4, 0x5461faf8
	v_fmaak_f32 v8, v3, v8, 0x548a37dc
	;; [unrolled: 1-line block ×3, first 2 shown]
	v_fma_f32 v21, -v15, v16, 1.0
	v_fmaak_f32 v4, v3, v4, 0x580d1937
	v_fmaak_f32 v8, v3, v8, 0x58325852
	;; [unrolled: 1-line block ×3, first 2 shown]
	v_fmac_f32_e32 v16, v21, v16
	v_mul_f32_e32 v25, 0x3f317217, v14
	v_fmaak_f32 v4, v3, v4, 0x5b741f1e
	v_fmaak_f32 v8, v3, v8, 0x5b9f0600
	v_fma_f32 v21, 0x3f317217, v14, -v25
	v_fmaak_f32 v4, v3, v4, 0x5e5c878d
	v_fmaak_f32 v3, v3, v8, 0x5e93bcac
	v_div_scale_f32 v8, null, v4, v4, v9
	v_div_scale_f32 v11, null, v3, v3, v10
	v_div_scale_f32 v19, vcc_lo, v9, v4, v9
	v_rcp_f32_e32 v12, v8
	v_rcp_f32_e32 v13, v11
	v_div_scale_f32 v20, s5, v10, v3, v10
	v_fma_f32 v17, -v8, v12, 1.0
	v_fma_f32 v18, -v11, v13, 1.0
	v_fmac_f32_e32 v12, v17, v12
	v_fmac_f32_e32 v13, v18, v13
	v_mul_f32_e32 v17, v19, v12
	v_mul_f32_e32 v18, v20, v13
	v_fma_f32 v22, -v8, v17, v19
	v_fma_f32 v23, -v11, v18, v20
	v_fmac_f32_e32 v17, v22, v12
	v_fmac_f32_e32 v18, v23, v13
	v_fma_f32 v8, -v8, v17, v19
	v_mul_f32_e32 v19, v24, v16
	v_fma_f32 v11, -v11, v18, v20
	v_div_fmas_f32 v8, v8, v12, v17
	s_mov_b32 vcc_lo, s5
	v_fma_f32 v12, -v15, v19, v24
	v_div_fmas_f32 v11, v11, v13, v18
	v_fmamk_f32 v13, v14, 0x3377d1cf, v21
	v_cmp_gt_f32_e64 vcc_lo, 0x7f800000, |v14|
	v_div_fixup_f32 v4, v8, v4, v9
	v_fmac_f32_e32 v19, v12, v16
	v_div_fixup_f32 v3, v11, v3, v10
	v_fmac_f32_e32 v13, 0x3f317217, v14
	v_fmaak_f32 v10, v5, v5, 0xc16ae95a
	v_fmaak_f32 v11, v5, v5, 0xc244dfb3
	v_fma_f32 v15, -v15, v19, v24
	v_mul_f32_e32 v3, v5, v3
	v_cndmask_b32_e32 v13, v14, v13, vcc_lo
	s_mov_b32 vcc_lo, s7
	v_cndmask_b32_e64 v12, 0, 0x41b17218, s4
	v_mul_f32_e32 v3, v10, v3
	v_div_fmas_f32 v10, v15, v16, v19
	v_sub_f32_e32 v12, v13, v12
	v_mul_f32_e32 v3, v11, v3
	v_div_fixup_f32 v10, v10, v5, -1.0
	v_fmac_f32_e32 v10, v12, v3
	v_mul_f32_e32 v3, 0x3f22f983, v10
	v_fmac_f32_e32 v3, v5, v4
.LBB17_5:
	s_or_b32 exec_lo, exec_lo, s17
.LBB17_6:
	s_or_b32 exec_lo, exec_lo, s16
.LBB17_7:
	s_andn2_saveexec_b32 s15, s15
	s_cbranch_execz .LBB17_19
; %bb.8:
	v_add_f32_e32 v3, 0xc016cbe4, v5
                                        ; implicit-def: $vgpr9
                                        ; implicit-def: $vgpr8
	v_and_b32_e32 v4, 0x7fffffff, v3
	v_cmp_ngt_f32_e64 s7, 0x48000000, |v3|
	v_lshrrev_b32_e32 v11, 23, v4
	s_and_saveexec_b32 s4, s7
	s_xor_b32 s16, exec_lo, s4
	s_cbranch_execz .LBB17_12
; %bb.9:
	s_mov_b32 s4, 0x7fffff
	v_mov_b32_e32 v10, 0
	v_and_or_b32 v18, v4, s4, 0x800000
	v_add_nc_u32_e32 v17, 0xffffff88, v11
	v_mad_u64_u32 v[8:9], null, 0xfe5163ab, v18, 0
	v_cmp_lt_u32_e32 vcc_lo, 63, v17
	v_cndmask_b32_e64 v19, 0, 0xffffffc0, vcc_lo
	v_mad_u64_u32 v[12:13], null, 0x3c439041, v18, v[9:10]
	v_add_nc_u32_e32 v19, v19, v17
	v_mov_b32_e32 v9, v13
	v_cmp_lt_u32_e64 s4, 31, v19
	v_mad_u64_u32 v[13:14], null, 0xdb629599, v18, v[9:10]
	v_cndmask_b32_e64 v20, 0, 0xffffffe0, s4
	v_mov_b32_e32 v9, v14
	v_cndmask_b32_e32 v8, v13, v8, vcc_lo
	v_mad_u64_u32 v[14:15], null, 0xf534ddc0, v18, v[9:10]
	v_mov_b32_e32 v9, v15
	v_cndmask_b32_e32 v12, v14, v12, vcc_lo
	v_mad_u64_u32 v[15:16], null, 0xfc2757d1, v18, v[9:10]
	v_cndmask_b32_e64 v8, v12, v8, s4
	v_mov_b32_e32 v9, v16
	v_mad_u64_u32 v[16:17], null, 0x4e441529, v18, v[9:10]
	v_mov_b32_e32 v9, v17
	v_add_nc_u32_e32 v17, v20, v19
	v_cndmask_b32_e32 v19, v16, v14, vcc_lo
	v_mad_u64_u32 v[9:10], null, 0xa2f9836e, v18, v[9:10]
	v_cmp_lt_u32_e64 s5, 31, v17
	v_cndmask_b32_e64 v18, 0, 0xffffffe0, s5
	v_cndmask_b32_e32 v9, v9, v15, vcc_lo
	v_cndmask_b32_e32 v10, v10, v16, vcc_lo
	;; [unrolled: 1-line block ×3, first 2 shown]
	v_add_nc_u32_e32 v16, v18, v17
	v_cndmask_b32_e64 v14, v9, v19, s4
	v_cndmask_b32_e64 v9, v10, v9, s4
	;; [unrolled: 1-line block ×4, first 2 shown]
	v_sub_nc_u32_e32 v17, 32, v16
	v_cmp_eq_u32_e32 vcc_lo, 0, v16
	v_cndmask_b32_e64 v9, v9, v14, s5
	v_cndmask_b32_e64 v14, v14, v10, s5
	;; [unrolled: 1-line block ×4, first 2 shown]
	v_alignbit_b32 v18, v9, v14, v17
	v_alignbit_b32 v13, v14, v10, v17
	;; [unrolled: 1-line block ×3, first 2 shown]
	v_cndmask_b32_e32 v9, v18, v9, vcc_lo
	v_cndmask_b32_e32 v12, v13, v14, vcc_lo
	;; [unrolled: 1-line block ×3, first 2 shown]
	v_bfe_u32 v13, v9, 29, 1
	v_alignbit_b32 v14, v9, v12, 30
	v_alignbit_b32 v12, v12, v10, 30
	;; [unrolled: 1-line block ×3, first 2 shown]
	v_sub_nc_u32_e32 v15, 0, v13
	v_xor_b32_e32 v14, v14, v15
	v_xor_b32_e32 v10, v12, v15
	;; [unrolled: 1-line block ×3, first 2 shown]
	v_lshrrev_b32_e32 v15, 29, v9
	v_lshrrev_b32_e32 v9, 30, v9
	v_ffbh_u32_e32 v16, v14
	v_add_nc_u32_e32 v9, v13, v9
	v_min_u32_e32 v16, 32, v16
	v_sub_nc_u32_e32 v12, 31, v16
	v_lshlrev_b32_e32 v17, 23, v16
	v_alignbit_b32 v14, v14, v10, v12
	v_alignbit_b32 v8, v10, v8, v12
	v_lshlrev_b32_e32 v10, 31, v15
	v_alignbit_b32 v12, v14, v8, 9
	v_or_b32_e32 v15, 0.5, v10
	v_lshrrev_b32_e32 v14, 9, v14
	v_or_b32_e32 v10, 0x33000000, v10
	v_ffbh_u32_e32 v18, v12
	v_sub_nc_u32_e32 v15, v15, v17
	v_min_u32_e32 v17, 32, v18
	v_or_b32_e32 v14, v14, v15
	v_not_b32_e32 v15, v17
	v_mul_f32_e32 v18, 0x3fc90fda, v14
	v_add_lshl_u32 v16, v17, v16, 23
	v_alignbit_b32 v8, v12, v8, v15
	v_fma_f32 v12, 0x3fc90fda, v14, -v18
	v_sub_nc_u32_e32 v10, v10, v16
	v_lshrrev_b32_e32 v8, 9, v8
	v_fmamk_f32 v12, v14, 0x33a22168, v12
	v_or_b32_e32 v8, v10, v8
	v_fmac_f32_e32 v12, 0x3fc90fda, v8
	v_add_f32_e32 v8, v18, v12
	s_or_saveexec_b32 s4, s16
	v_mul_f32_e64 v13, 0x3f22f983, |v3|
	s_xor_b32 exec_lo, exec_lo, s4
	s_branch .LBB17_13
.LBB17_10:
	s_and_b32 vcc_lo, exec_lo, s5
	s_cbranch_vccz .LBB17_68
; %bb.11:
	v_mov_b32_e32 v31, v0
	v_mov_b32_e32 v0, s8
	;; [unrolled: 1-line block ×6, first 2 shown]
	s_getpc_b64 s[4:5]
	s_add_u32 s4, s4, _ZN2at6native25elementwise_kernel_helperILb0EZZZNS0_12_GLOBAL__N_121bessel_y1_kernel_cudaERNS_18TensorIteratorBaseEENKUlvE_clEvENKUlvE0_clEvEUlfE_NS0_6memory8policies11unroll_baseILi256ESt5arrayIPcLm2EE23TrivialOffsetCalculatorILi1EjESF_NS8_15LoadWithoutCastENS8_16StoreWithoutCastELi4ELi1EEEEEvT0_T1_@rel32@lo+4
	s_addc_u32 s5, s5, _ZN2at6native25elementwise_kernel_helperILb0EZZZNS0_12_GLOBAL__N_121bessel_y1_kernel_cudaERNS_18TensorIteratorBaseEENKUlvE_clEvENKUlvE0_clEvEUlfE_NS0_6memory8policies11unroll_baseILi256ESt5arrayIPcLm2EE23TrivialOffsetCalculatorILi1EjESF_NS8_15LoadWithoutCastENS8_16StoreWithoutCastELi4ELi1EEEEEvT0_T1_@rel32@hi+12
	s_mov_b32 s12, s6
	s_swappc_b64 s[30:31], s[4:5]
	s_endpgm
.LBB17_12:
	s_or_saveexec_b32 s4, s16
	v_mul_f32_e64 v13, 0x3f22f983, |v3|
	s_xor_b32 exec_lo, exec_lo, s4
.LBB17_13:
	v_rndne_f32_e32 v9, v13
	v_fma_f32 v8, 0xbfc90fda, v9, |v3|
	v_fmamk_f32 v8, v9, 0xb3a22168, v8
	v_fmamk_f32 v8, v9, 0xa7c234c4, v8
	v_cvt_i32_f32_e32 v9, v9
; %bb.14:
	s_or_b32 exec_lo, exec_lo, s4
                                        ; implicit-def: $vgpr12
                                        ; implicit-def: $vgpr10
	s_and_saveexec_b32 s4, s7
	s_xor_b32 s7, exec_lo, s4
	s_cbranch_execz .LBB17_16
; %bb.15:
	s_mov_b32 s4, 0x7fffff
	v_mov_b32_e32 v14, 0
	v_and_or_b32 v20, v4, s4, 0x800000
	v_mad_u64_u32 v[12:13], null, 0xfe5163ab, v20, 0
	v_mad_u64_u32 v[15:16], null, 0x3c439041, v20, v[13:14]
	v_mov_b32_e32 v13, v16
	v_mad_u64_u32 v[16:17], null, 0xdb629599, v20, v[13:14]
	v_mov_b32_e32 v13, v17
	;; [unrolled: 2-line block ×3, first 2 shown]
	v_add_nc_u32_e32 v18, 0xffffff88, v11
	v_mad_u64_u32 v[10:11], null, 0xfc2757d1, v20, v[13:14]
	v_cmp_lt_u32_e32 vcc_lo, 63, v18
	v_cndmask_b32_e64 v19, 0, 0xffffffc0, vcc_lo
	v_mov_b32_e32 v13, v11
	v_cndmask_b32_e32 v15, v17, v15, vcc_lo
	v_cndmask_b32_e32 v12, v16, v12, vcc_lo
	v_add_nc_u32_e32 v11, v19, v18
	v_mad_u64_u32 v[18:19], null, 0x4e441529, v20, v[13:14]
	v_cmp_lt_u32_e64 s4, 31, v11
	v_mov_b32_e32 v13, v19
	v_cndmask_b32_e64 v21, 0, 0xffffffe0, s4
	v_cndmask_b32_e64 v12, v15, v12, s4
	v_mad_u64_u32 v[13:14], null, 0xa2f9836e, v20, v[13:14]
	v_add_nc_u32_e32 v11, v21, v11
	v_cndmask_b32_e32 v20, v18, v17, vcc_lo
	v_cmp_lt_u32_e64 s5, 31, v11
	v_cndmask_b32_e32 v13, v13, v10, vcc_lo
	v_cndmask_b32_e32 v14, v14, v18, vcc_lo
	;; [unrolled: 1-line block ×3, first 2 shown]
	v_cndmask_b32_e64 v19, 0, 0xffffffe0, s5
	v_cndmask_b32_e64 v17, v13, v20, s4
	;; [unrolled: 1-line block ×5, first 2 shown]
	v_add_nc_u32_e32 v11, v19, v11
	v_cndmask_b32_e64 v13, v13, v17, s5
	v_cndmask_b32_e64 v17, v17, v14, s5
	;; [unrolled: 1-line block ×3, first 2 shown]
	v_sub_nc_u32_e32 v18, 32, v11
	v_cmp_eq_u32_e32 vcc_lo, 0, v11
	v_cndmask_b32_e64 v10, v10, v12, s5
	v_alignbit_b32 v19, v13, v17, v18
	v_alignbit_b32 v16, v17, v14, v18
	v_cndmask_b32_e32 v11, v19, v13, vcc_lo
	v_cndmask_b32_e32 v13, v16, v17, vcc_lo
	v_alignbit_b32 v17, v14, v10, v18
	v_bfe_u32 v15, v11, 29, 1
	v_alignbit_b32 v12, v11, v13, 30
	v_cndmask_b32_e32 v14, v17, v14, vcc_lo
	v_sub_nc_u32_e32 v16, 0, v15
	v_alignbit_b32 v13, v13, v14, 30
	v_alignbit_b32 v10, v14, v10, 30
	v_xor_b32_e32 v12, v12, v16
	v_xor_b32_e32 v13, v13, v16
	;; [unrolled: 1-line block ×3, first 2 shown]
	v_lshrrev_b32_e32 v16, 29, v11
	v_ffbh_u32_e32 v17, v12
	v_lshrrev_b32_e32 v11, 30, v11
	v_min_u32_e32 v17, 32, v17
	v_sub_nc_u32_e32 v14, 31, v17
	v_lshlrev_b32_e32 v18, 23, v17
	v_alignbit_b32 v12, v12, v13, v14
	v_alignbit_b32 v10, v13, v10, v14
	v_lshlrev_b32_e32 v13, 31, v16
	v_alignbit_b32 v14, v12, v10, 9
	v_or_b32_e32 v16, 0.5, v13
	v_lshrrev_b32_e32 v12, 9, v12
	v_or_b32_e32 v13, 0x33000000, v13
	v_ffbh_u32_e32 v19, v14
	v_sub_nc_u32_e32 v16, v16, v18
	v_min_u32_e32 v18, 32, v19
	v_or_b32_e32 v12, v12, v16
	v_not_b32_e32 v16, v18
	v_mul_f32_e32 v19, 0x3fc90fda, v12
	v_add_lshl_u32 v17, v18, v17, 23
	v_alignbit_b32 v10, v14, v10, v16
	v_fma_f32 v14, 0x3fc90fda, v12, -v19
	v_sub_nc_u32_e32 v13, v13, v17
	v_lshrrev_b32_e32 v10, 9, v10
	v_fmamk_f32 v12, v12, 0x33a22168, v14
	v_or_b32_e32 v10, v13, v10
                                        ; implicit-def: $vgpr13
	v_fmac_f32_e32 v12, 0x3fc90fda, v10
	v_add_f32_e32 v10, v19, v12
	v_add_nc_u32_e32 v12, v15, v11
	s_andn2_saveexec_b32 s4, s7
	s_cbranch_execnz .LBB17_17
	s_branch .LBB17_18
.LBB17_16:
	s_andn2_saveexec_b32 s4, s7
.LBB17_17:
	v_rndne_f32_e32 v11, v13
	v_fma_f32 v10, 0xbfc90fda, v11, |v3|
	v_cvt_i32_f32_e32 v12, v11
	v_fmamk_f32 v10, v11, 0xb3a22168, v10
	v_fmamk_f32 v10, v11, 0xa7c234c4, v10
.LBB17_18:
	s_or_b32 exec_lo, exec_lo, s4
	v_div_scale_f32 v11, null, v5, v5, 0x40a00000
	v_div_scale_f32 v15, vcc_lo, 0x40a00000, v5, 0x40a00000
	s_mov_b32 s4, 0xb94c1982
	v_rcp_f32_e32 v13, v11
	v_mul_f32_e32 v22, 0x4f800000, v5
	s_mov_b32 s5, 0x37d75334
	v_and_b32_e32 v17, 1, v12
	v_xor_b32_e32 v4, v4, v3
	v_lshlrev_b32_e32 v12, 30, v12
	v_and_b32_e32 v12, 0x80000000, v12
	v_fma_f32 v14, -v11, v13, 1.0
	v_fmac_f32_e32 v13, v14, v13
	v_mul_f32_e32 v14, v15, v13
	v_fma_f32 v16, -v11, v14, v15
	v_fmac_f32_e32 v14, v16, v13
	v_mul_f32_e32 v16, v10, v10
	v_fma_f32 v11, -v11, v14, v15
	v_fmaak_f32 v25, s4, v16, 0x3c0881c4
	v_fmaak_f32 v26, s5, v16, 0xbab64f3b
	v_div_fmas_f32 v11, v11, v13, v14
	v_mul_f32_e32 v13, v8, v8
	v_fmaak_f32 v26, v16, v26, 0x3d2aabf7
	v_and_b32_e32 v14, 1, v9
	v_fmaak_f32 v25, v16, v25, 0xbe2aaa9d
	v_div_fixup_f32 v11, v11, v5, 0x40a00000
	v_fmaak_f32 v23, s4, v13, 0x3c0881c4
	v_cmp_gt_f32_e64 s4, 0xf800000, v5
	v_fmaak_f32 v24, s5, v13, 0xbab64f3b
	v_fmaak_f32 v26, v16, v26, 0xbf000004
	v_mul_f32_e32 v15, v11, v11
	v_fmaak_f32 v23, v13, v23, 0xbe2aaa9d
	v_cndmask_b32_e64 v5, v5, v22, s4
	v_fmaak_f32 v24, v13, v24, 0x3d2aabf7
	v_mul_f32_e32 v25, v16, v25
	v_fmaak_f32 v18, 0, v15, 0x3d513fd3
	v_fmaak_f32 v19, 0, v15, 0x3a15c4d9
	;; [unrolled: 1-line block ×4, first 2 shown]
	v_mul_f32_e32 v23, v13, v23
	v_fmaak_f32 v18, v15, v18, 0x409f6dae
	v_fmaak_f32 v19, v15, v19, 0x3d8cfeeb
	;; [unrolled: 1-line block ×9, first 2 shown]
	v_fmac_f32_e32 v8, v8, v23
	v_fmaak_f32 v18, v15, v18, 0x43b763ca
	v_fmaak_f32 v19, v15, v19, 0x40a25d18
	;; [unrolled: 1-line block ×4, first 2 shown]
	v_sqrt_f32_e32 v29, v5
	v_fmaak_f32 v18, v15, v18, 0x4431b6ce
	v_fmaak_f32 v19, v15, v19, 0x410665cf
	;; [unrolled: 1-line block ×4, first 2 shown]
	v_fma_f32 v13, v13, v24, 1.0
	v_fmaak_f32 v18, v15, v18, 0x44155f56
	v_fmaak_f32 v19, v15, v19, 0x40a6b6ea
	v_fmaak_f32 v20, v15, v20, 0x40a6dd51
	v_fmaak_f32 v21, v15, v21, 0x4530a316
	v_fma_f32 v16, v16, v26, 1.0
	v_fmaak_f32 v18, v15, v18, 0x4353b052
	v_fma_f32 v19, v15, v19, 1.0
	v_fma_f32 v20, v15, v20, 1.0
	v_fmaak_f32 v21, v15, v21, 0x43a80bfb
	v_cmp_eq_u32_e64 s7, 0, v14
	v_fmaak_f32 v15, v15, v18, 0x41c9a7fa
	v_lshlrev_b32_e32 v9, 30, v9
	v_div_scale_f32 v18, null, v19, v19, v20
	v_div_scale_f32 v32, vcc_lo, v20, v19, v20
	v_div_scale_f32 v27, null, v21, v21, v15
	v_rcp_f32_e32 v22, v18
	v_fmac_f32_e32 v10, v10, v25
	v_cndmask_b32_e64 v8, v13, v8, s7
	v_rcp_f32_e32 v28, v27
	v_cmp_eq_u32_e64 s7, 0, v17
	v_and_b32_e32 v9, 0x80000000, v9
	v_add_nc_u32_e32 v25, -1, v29
	v_cndmask_b32_e64 v10, -v10, v16, s7
	v_fma_f32 v30, -v18, v22, 1.0
	v_fma_f32 v13, -v25, v29, v5
	v_xor3_b32 v4, v4, v9, v8
	v_fma_f32 v31, -v27, v28, 1.0
	v_xor_b32_e32 v10, v12, v10
	v_fmac_f32_e32 v22, v30, v22
	v_div_scale_f32 v30, s5, v15, v21, v15
	v_fmac_f32_e32 v28, v31, v28
	v_add_nc_u32_e32 v31, 1, v29
	v_mul_f32_e32 v23, v32, v22
	v_mul_f32_e32 v24, v30, v28
	v_fma_f32 v14, -v31, v29, v5
	v_fma_f32 v26, -v18, v23, v32
	;; [unrolled: 1-line block ×3, first 2 shown]
	v_fmac_f32_e32 v23, v26, v22
	v_fmac_f32_e32 v24, v33, v28
	v_fma_f32 v16, -v18, v23, v32
	v_fma_f32 v8, -v27, v24, v30
	v_div_fmas_f32 v9, v16, v22, v23
	s_mov_b32 vcc_lo, s5
	v_cmp_ge_f32_e64 s5, 0, v13
	v_div_fmas_f32 v8, v8, v28, v24
	v_cmp_class_f32_e64 vcc_lo, v3, 0x1f8
	v_div_fixup_f32 v9, v9, v19, v20
	v_cndmask_b32_e64 v3, v29, v25, s5
	v_div_fixup_f32 v8, v8, v21, v15
	v_cmp_lt_f32_e64 s5, 0, v14
	v_cndmask_b32_e32 v10, 0x7fc00000, v10, vcc_lo
	v_cndmask_b32_e32 v4, 0x7fc00000, v4, vcc_lo
	v_cmp_class_f32_e64 vcc_lo, v5, 0x260
	v_mul_f32_e32 v8, v11, v8
	v_cndmask_b32_e64 v3, v3, v31, s5
	v_mul_f32_e32 v8, v8, v10
	v_mul_f32_e32 v11, 0x37800000, v3
	v_fmac_f32_e32 v8, v9, v4
	v_cndmask_b32_e64 v3, v3, v11, s4
	v_mul_f32_e32 v4, 0x3f4c422a, v8
	v_cndmask_b32_e32 v3, v3, v5, vcc_lo
	v_div_scale_f32 v5, null, v3, v3, v4
	v_rcp_f32_e32 v8, v5
	v_fma_f32 v9, -v5, v8, 1.0
	v_fmac_f32_e32 v8, v9, v8
	v_div_scale_f32 v9, vcc_lo, v4, v3, v4
	v_mul_f32_e32 v10, v9, v8
	v_fma_f32 v11, -v5, v10, v9
	v_fmac_f32_e32 v10, v11, v8
	v_fma_f32 v5, -v5, v10, v9
	v_div_fmas_f32 v5, v5, v8, v10
	v_div_fixup_f32 v3, v5, v3, v4
.LBB17_19:
	s_or_b32 exec_lo, exec_lo, s15
	s_mov_b32 s4, exec_lo
	v_cmpx_ge_f32_e32 0x40a00000, v6
	s_xor_b32 s15, exec_lo, s4
	s_cbranch_execz .LBB17_25
; %bb.20:
	v_mov_b32_e32 v4, 0xff800000
	s_mov_b32 s16, exec_lo
	v_cmpx_neq_f32_e32 0, v6
	s_cbranch_execz .LBB17_24
; %bb.21:
	v_mov_b32_e32 v4, 0x7fc00000
	s_mov_b32 s17, exec_lo
	v_cmpx_nge_f32_e32 0, v6
	s_cbranch_execz .LBB17_23
; %bb.22:
	v_mul_f32_e32 v4, v6, v6
	v_cmp_gt_f32_e64 s4, 0x800000, v6
	v_div_scale_f32 v15, null, v6, v6, -1.0
	v_div_scale_f32 v24, s7, -1.0, v6, -1.0
	v_fmaak_f32 v5, 0, v4, 0x4414934d
	v_fmaak_f32 v8, 0, v4, 0x441b3589
	;; [unrolled: 1-line block ×4, first 2 shown]
	v_cndmask_b32_e64 v14, 0, 32, s4
	v_fmaak_f32 v5, v4, v5, 0x48660b06
	v_fmaak_f32 v8, v4, v8, 0x487af6d0
	;; [unrolled: 1-line block ×4, first 2 shown]
	v_rcp_f32_e32 v16, v15
	v_fmaak_f32 v5, v4, v5, 0x4c8c277d
	v_fmaak_f32 v8, v4, v8, 0x4c9f4aa7
	v_fmaak_f32 v9, v4, v9, 0x56d04aa6
	v_fmaak_f32 v10, v4, v10, 0xd6845497
	v_ldexp_f32 v14, v6, v14
	v_fmaak_f32 v5, v4, v5, 0x508bc61d
	v_fmaak_f32 v8, v4, v8, 0x50a509fc
	;; [unrolled: 1-line block ×4, first 2 shown]
	v_log_f32_e32 v14, v14
	v_fmaak_f32 v5, v4, v5, 0x5461faf8
	v_fmaak_f32 v8, v4, v8, 0x548a37dc
	;; [unrolled: 1-line block ×3, first 2 shown]
	v_fma_f32 v21, -v15, v16, 1.0
	v_fmaak_f32 v5, v4, v5, 0x580d1937
	v_fmaak_f32 v8, v4, v8, 0x58325852
	;; [unrolled: 1-line block ×3, first 2 shown]
	v_fmac_f32_e32 v16, v21, v16
	v_mul_f32_e32 v25, 0x3f317217, v14
	v_fmaak_f32 v5, v4, v5, 0x5b741f1e
	v_fmaak_f32 v8, v4, v8, 0x5b9f0600
	v_fma_f32 v21, 0x3f317217, v14, -v25
	v_fmaak_f32 v5, v4, v5, 0x5e5c878d
	v_fmaak_f32 v4, v4, v8, 0x5e93bcac
	v_div_scale_f32 v8, null, v5, v5, v9
	v_div_scale_f32 v11, null, v4, v4, v10
	v_div_scale_f32 v19, vcc_lo, v9, v5, v9
	v_rcp_f32_e32 v12, v8
	v_rcp_f32_e32 v13, v11
	v_div_scale_f32 v20, s5, v10, v4, v10
	v_fma_f32 v17, -v8, v12, 1.0
	v_fma_f32 v18, -v11, v13, 1.0
	v_fmac_f32_e32 v12, v17, v12
	v_fmac_f32_e32 v13, v18, v13
	v_mul_f32_e32 v17, v19, v12
	v_mul_f32_e32 v18, v20, v13
	v_fma_f32 v22, -v8, v17, v19
	v_fma_f32 v23, -v11, v18, v20
	v_fmac_f32_e32 v17, v22, v12
	v_fmac_f32_e32 v18, v23, v13
	v_fma_f32 v8, -v8, v17, v19
	v_mul_f32_e32 v19, v24, v16
	v_fma_f32 v11, -v11, v18, v20
	v_div_fmas_f32 v8, v8, v12, v17
	s_mov_b32 vcc_lo, s5
	v_fma_f32 v12, -v15, v19, v24
	v_div_fmas_f32 v11, v11, v13, v18
	v_fmamk_f32 v13, v14, 0x3377d1cf, v21
	v_cmp_gt_f32_e64 vcc_lo, 0x7f800000, |v14|
	v_div_fixup_f32 v5, v8, v5, v9
	v_fmac_f32_e32 v19, v12, v16
	v_div_fixup_f32 v4, v11, v4, v10
	v_fmac_f32_e32 v13, 0x3f317217, v14
	v_fmaak_f32 v10, v6, v6, 0xc16ae95a
	v_fmaak_f32 v11, v6, v6, 0xc244dfb3
	v_fma_f32 v15, -v15, v19, v24
	v_mul_f32_e32 v4, v6, v4
	v_cndmask_b32_e32 v13, v14, v13, vcc_lo
	s_mov_b32 vcc_lo, s7
	v_cndmask_b32_e64 v12, 0, 0x41b17218, s4
	v_mul_f32_e32 v4, v10, v4
	v_div_fmas_f32 v10, v15, v16, v19
	v_sub_f32_e32 v12, v13, v12
	v_mul_f32_e32 v4, v11, v4
	v_div_fixup_f32 v10, v10, v6, -1.0
	v_fmac_f32_e32 v10, v12, v4
	v_mul_f32_e32 v4, 0x3f22f983, v10
	v_fmac_f32_e32 v4, v6, v5
.LBB17_23:
	s_or_b32 exec_lo, exec_lo, s17
.LBB17_24:
	s_or_b32 exec_lo, exec_lo, s16
                                        ; implicit-def: $vgpr5_vgpr6
.LBB17_25:
	s_andn2_saveexec_b32 s15, s15
	s_cbranch_execz .LBB17_35
; %bb.26:
	v_add_f32_e32 v4, 0xc016cbe4, v6
                                        ; implicit-def: $vgpr9
                                        ; implicit-def: $vgpr8
	v_and_b32_e32 v5, 0x7fffffff, v4
	v_cmp_ngt_f32_e64 s7, 0x48000000, |v4|
	v_lshrrev_b32_e32 v11, 23, v5
	s_and_saveexec_b32 s4, s7
	s_xor_b32 s16, exec_lo, s4
	s_cbranch_execz .LBB17_28
; %bb.27:
	s_mov_b32 s4, 0x7fffff
	v_mov_b32_e32 v10, 0
	v_and_or_b32 v18, v5, s4, 0x800000
	v_add_nc_u32_e32 v17, 0xffffff88, v11
	v_mad_u64_u32 v[8:9], null, 0xfe5163ab, v18, 0
	v_cmp_lt_u32_e32 vcc_lo, 63, v17
	v_cndmask_b32_e64 v19, 0, 0xffffffc0, vcc_lo
	v_mad_u64_u32 v[12:13], null, 0x3c439041, v18, v[9:10]
	v_add_nc_u32_e32 v19, v19, v17
	v_mov_b32_e32 v9, v13
	v_cmp_lt_u32_e64 s4, 31, v19
	v_mad_u64_u32 v[13:14], null, 0xdb629599, v18, v[9:10]
	v_cndmask_b32_e64 v20, 0, 0xffffffe0, s4
	v_mov_b32_e32 v9, v14
	v_cndmask_b32_e32 v8, v13, v8, vcc_lo
	v_mad_u64_u32 v[14:15], null, 0xf534ddc0, v18, v[9:10]
	v_mov_b32_e32 v9, v15
	v_cndmask_b32_e32 v12, v14, v12, vcc_lo
	v_mad_u64_u32 v[15:16], null, 0xfc2757d1, v18, v[9:10]
	v_cndmask_b32_e64 v8, v12, v8, s4
	v_mov_b32_e32 v9, v16
	v_mad_u64_u32 v[16:17], null, 0x4e441529, v18, v[9:10]
	v_mov_b32_e32 v9, v17
	v_add_nc_u32_e32 v17, v20, v19
	v_cndmask_b32_e32 v19, v16, v14, vcc_lo
	v_mad_u64_u32 v[9:10], null, 0xa2f9836e, v18, v[9:10]
	v_cmp_lt_u32_e64 s5, 31, v17
	v_cndmask_b32_e64 v18, 0, 0xffffffe0, s5
	v_cndmask_b32_e32 v9, v9, v15, vcc_lo
	v_cndmask_b32_e32 v10, v10, v16, vcc_lo
	;; [unrolled: 1-line block ×3, first 2 shown]
	v_add_nc_u32_e32 v16, v18, v17
	v_cndmask_b32_e64 v14, v9, v19, s4
	v_cndmask_b32_e64 v9, v10, v9, s4
	;; [unrolled: 1-line block ×4, first 2 shown]
	v_sub_nc_u32_e32 v17, 32, v16
	v_cmp_eq_u32_e32 vcc_lo, 0, v16
	v_cndmask_b32_e64 v9, v9, v14, s5
	v_cndmask_b32_e64 v14, v14, v10, s5
	;; [unrolled: 1-line block ×4, first 2 shown]
	v_alignbit_b32 v18, v9, v14, v17
	v_alignbit_b32 v13, v14, v10, v17
	;; [unrolled: 1-line block ×3, first 2 shown]
	v_cndmask_b32_e32 v9, v18, v9, vcc_lo
	v_cndmask_b32_e32 v12, v13, v14, vcc_lo
	;; [unrolled: 1-line block ×3, first 2 shown]
	v_bfe_u32 v13, v9, 29, 1
	v_alignbit_b32 v14, v9, v12, 30
	v_alignbit_b32 v12, v12, v10, 30
	;; [unrolled: 1-line block ×3, first 2 shown]
	v_sub_nc_u32_e32 v15, 0, v13
	v_xor_b32_e32 v14, v14, v15
	v_xor_b32_e32 v10, v12, v15
	;; [unrolled: 1-line block ×3, first 2 shown]
	v_lshrrev_b32_e32 v15, 29, v9
	v_lshrrev_b32_e32 v9, 30, v9
	v_ffbh_u32_e32 v16, v14
	v_add_nc_u32_e32 v9, v13, v9
	v_min_u32_e32 v16, 32, v16
	v_sub_nc_u32_e32 v12, 31, v16
	v_lshlrev_b32_e32 v17, 23, v16
	v_alignbit_b32 v14, v14, v10, v12
	v_alignbit_b32 v8, v10, v8, v12
	v_lshlrev_b32_e32 v10, 31, v15
	v_alignbit_b32 v12, v14, v8, 9
	v_or_b32_e32 v15, 0.5, v10
	v_lshrrev_b32_e32 v14, 9, v14
	v_or_b32_e32 v10, 0x33000000, v10
	v_ffbh_u32_e32 v18, v12
	v_sub_nc_u32_e32 v15, v15, v17
	v_min_u32_e32 v17, 32, v18
	v_or_b32_e32 v14, v14, v15
	v_not_b32_e32 v15, v17
	v_mul_f32_e32 v18, 0x3fc90fda, v14
	v_add_lshl_u32 v16, v17, v16, 23
	v_alignbit_b32 v8, v12, v8, v15
	v_fma_f32 v12, 0x3fc90fda, v14, -v18
	v_sub_nc_u32_e32 v10, v10, v16
	v_lshrrev_b32_e32 v8, 9, v8
	v_fmamk_f32 v12, v14, 0x33a22168, v12
	v_or_b32_e32 v8, v10, v8
	v_fmac_f32_e32 v12, 0x3fc90fda, v8
	v_add_f32_e32 v8, v18, v12
	s_or_saveexec_b32 s4, s16
	v_mul_f32_e64 v13, 0x3f22f983, |v4|
	s_xor_b32 exec_lo, exec_lo, s4
	s_branch .LBB17_29
.LBB17_28:
	s_or_saveexec_b32 s4, s16
	v_mul_f32_e64 v13, 0x3f22f983, |v4|
	s_xor_b32 exec_lo, exec_lo, s4
.LBB17_29:
	v_rndne_f32_e32 v9, v13
	v_fma_f32 v8, 0xbfc90fda, v9, |v4|
	v_fmamk_f32 v8, v9, 0xb3a22168, v8
	v_fmamk_f32 v8, v9, 0xa7c234c4, v8
	v_cvt_i32_f32_e32 v9, v9
; %bb.30:
	s_or_b32 exec_lo, exec_lo, s4
                                        ; implicit-def: $vgpr12
                                        ; implicit-def: $vgpr10
	s_and_saveexec_b32 s4, s7
	s_xor_b32 s7, exec_lo, s4
	s_cbranch_execz .LBB17_32
; %bb.31:
	s_mov_b32 s4, 0x7fffff
	v_mov_b32_e32 v14, 0
	v_and_or_b32 v20, v5, s4, 0x800000
	v_mad_u64_u32 v[12:13], null, 0xfe5163ab, v20, 0
	v_mad_u64_u32 v[15:16], null, 0x3c439041, v20, v[13:14]
	v_mov_b32_e32 v13, v16
	v_mad_u64_u32 v[16:17], null, 0xdb629599, v20, v[13:14]
	v_mov_b32_e32 v13, v17
	;; [unrolled: 2-line block ×3, first 2 shown]
	v_add_nc_u32_e32 v18, 0xffffff88, v11
	v_mad_u64_u32 v[10:11], null, 0xfc2757d1, v20, v[13:14]
	v_cmp_lt_u32_e32 vcc_lo, 63, v18
	v_cndmask_b32_e64 v19, 0, 0xffffffc0, vcc_lo
	v_mov_b32_e32 v13, v11
	v_cndmask_b32_e32 v15, v17, v15, vcc_lo
	v_cndmask_b32_e32 v12, v16, v12, vcc_lo
	v_add_nc_u32_e32 v11, v19, v18
	v_mad_u64_u32 v[18:19], null, 0x4e441529, v20, v[13:14]
	v_cmp_lt_u32_e64 s4, 31, v11
	v_mov_b32_e32 v13, v19
	v_cndmask_b32_e64 v21, 0, 0xffffffe0, s4
	v_cndmask_b32_e64 v12, v15, v12, s4
	v_mad_u64_u32 v[13:14], null, 0xa2f9836e, v20, v[13:14]
	v_add_nc_u32_e32 v11, v21, v11
	v_cndmask_b32_e32 v20, v18, v17, vcc_lo
	v_cmp_lt_u32_e64 s5, 31, v11
	v_cndmask_b32_e32 v13, v13, v10, vcc_lo
	v_cndmask_b32_e32 v14, v14, v18, vcc_lo
	;; [unrolled: 1-line block ×3, first 2 shown]
	v_cndmask_b32_e64 v19, 0, 0xffffffe0, s5
	v_cndmask_b32_e64 v17, v13, v20, s4
	;; [unrolled: 1-line block ×5, first 2 shown]
	v_add_nc_u32_e32 v11, v19, v11
	v_cndmask_b32_e64 v13, v13, v17, s5
	v_cndmask_b32_e64 v17, v17, v14, s5
	;; [unrolled: 1-line block ×3, first 2 shown]
	v_sub_nc_u32_e32 v18, 32, v11
	v_cmp_eq_u32_e32 vcc_lo, 0, v11
	v_cndmask_b32_e64 v10, v10, v12, s5
	v_alignbit_b32 v19, v13, v17, v18
	v_alignbit_b32 v16, v17, v14, v18
	v_cndmask_b32_e32 v11, v19, v13, vcc_lo
	v_cndmask_b32_e32 v13, v16, v17, vcc_lo
	v_alignbit_b32 v17, v14, v10, v18
	v_bfe_u32 v15, v11, 29, 1
	v_alignbit_b32 v12, v11, v13, 30
	v_cndmask_b32_e32 v14, v17, v14, vcc_lo
	v_sub_nc_u32_e32 v16, 0, v15
	v_alignbit_b32 v13, v13, v14, 30
	v_alignbit_b32 v10, v14, v10, 30
	v_xor_b32_e32 v12, v12, v16
	v_xor_b32_e32 v13, v13, v16
	v_xor_b32_e32 v10, v10, v16
	v_lshrrev_b32_e32 v16, 29, v11
	v_ffbh_u32_e32 v17, v12
	v_lshrrev_b32_e32 v11, 30, v11
	v_min_u32_e32 v17, 32, v17
	v_sub_nc_u32_e32 v14, 31, v17
	v_lshlrev_b32_e32 v18, 23, v17
	v_alignbit_b32 v12, v12, v13, v14
	v_alignbit_b32 v10, v13, v10, v14
	v_lshlrev_b32_e32 v13, 31, v16
	v_alignbit_b32 v14, v12, v10, 9
	v_or_b32_e32 v16, 0.5, v13
	v_lshrrev_b32_e32 v12, 9, v12
	v_or_b32_e32 v13, 0x33000000, v13
	v_ffbh_u32_e32 v19, v14
	v_sub_nc_u32_e32 v16, v16, v18
	v_min_u32_e32 v18, 32, v19
	v_or_b32_e32 v12, v12, v16
	v_not_b32_e32 v16, v18
	v_mul_f32_e32 v19, 0x3fc90fda, v12
	v_add_lshl_u32 v17, v18, v17, 23
	v_alignbit_b32 v10, v14, v10, v16
	v_fma_f32 v14, 0x3fc90fda, v12, -v19
	v_sub_nc_u32_e32 v13, v13, v17
	v_lshrrev_b32_e32 v10, 9, v10
	v_fmamk_f32 v12, v12, 0x33a22168, v14
	v_or_b32_e32 v10, v13, v10
                                        ; implicit-def: $vgpr13
	v_fmac_f32_e32 v12, 0x3fc90fda, v10
	v_add_f32_e32 v10, v19, v12
	v_add_nc_u32_e32 v12, v15, v11
	s_andn2_saveexec_b32 s4, s7
	s_cbranch_execnz .LBB17_33
	s_branch .LBB17_34
.LBB17_32:
	s_andn2_saveexec_b32 s4, s7
.LBB17_33:
	v_rndne_f32_e32 v11, v13
	v_fma_f32 v10, 0xbfc90fda, v11, |v4|
	v_cvt_i32_f32_e32 v12, v11
	v_fmamk_f32 v10, v11, 0xb3a22168, v10
	v_fmamk_f32 v10, v11, 0xa7c234c4, v10
.LBB17_34:
	s_or_b32 exec_lo, exec_lo, s4
	v_div_scale_f32 v11, null, v6, v6, 0x40a00000
	v_div_scale_f32 v15, vcc_lo, 0x40a00000, v6, 0x40a00000
	s_mov_b32 s4, 0xb94c1982
	v_rcp_f32_e32 v13, v11
	v_mul_f32_e32 v22, 0x4f800000, v6
	s_mov_b32 s5, 0x37d75334
	v_and_b32_e32 v17, 1, v12
	v_xor_b32_e32 v5, v5, v4
	v_lshlrev_b32_e32 v12, 30, v12
	v_and_b32_e32 v12, 0x80000000, v12
	v_fma_f32 v14, -v11, v13, 1.0
	v_fmac_f32_e32 v13, v14, v13
	v_mul_f32_e32 v14, v15, v13
	v_fma_f32 v16, -v11, v14, v15
	v_fmac_f32_e32 v14, v16, v13
	v_mul_f32_e32 v16, v10, v10
	v_fma_f32 v11, -v11, v14, v15
	v_fmaak_f32 v25, s4, v16, 0x3c0881c4
	v_fmaak_f32 v26, s5, v16, 0xbab64f3b
	v_div_fmas_f32 v11, v11, v13, v14
	v_mul_f32_e32 v13, v8, v8
	v_fmaak_f32 v26, v16, v26, 0x3d2aabf7
	v_and_b32_e32 v14, 1, v9
	v_fmaak_f32 v25, v16, v25, 0xbe2aaa9d
	v_div_fixup_f32 v11, v11, v6, 0x40a00000
	v_fmaak_f32 v23, s4, v13, 0x3c0881c4
	v_cmp_gt_f32_e64 s4, 0xf800000, v6
	v_fmaak_f32 v24, s5, v13, 0xbab64f3b
	v_fmaak_f32 v26, v16, v26, 0xbf000004
	v_mul_f32_e32 v15, v11, v11
	v_fmaak_f32 v23, v13, v23, 0xbe2aaa9d
	v_cndmask_b32_e64 v6, v6, v22, s4
	v_fmaak_f32 v24, v13, v24, 0x3d2aabf7
	v_mul_f32_e32 v25, v16, v25
	v_fmaak_f32 v18, 0, v15, 0x3d513fd3
	v_fmaak_f32 v19, 0, v15, 0x3a15c4d9
	;; [unrolled: 1-line block ×4, first 2 shown]
	v_mul_f32_e32 v23, v13, v23
	v_fmaak_f32 v18, v15, v18, 0x409f6dae
	v_fmaak_f32 v19, v15, v19, 0x3d8cfeeb
	;; [unrolled: 1-line block ×9, first 2 shown]
	v_fmac_f32_e32 v8, v8, v23
	v_fmaak_f32 v18, v15, v18, 0x43b763ca
	v_fmaak_f32 v19, v15, v19, 0x40a25d18
	;; [unrolled: 1-line block ×4, first 2 shown]
	v_sqrt_f32_e32 v29, v6
	v_fmaak_f32 v18, v15, v18, 0x4431b6ce
	v_fmaak_f32 v19, v15, v19, 0x410665cf
	;; [unrolled: 1-line block ×4, first 2 shown]
	v_fma_f32 v13, v13, v24, 1.0
	v_fmaak_f32 v18, v15, v18, 0x44155f56
	v_fmaak_f32 v19, v15, v19, 0x40a6b6ea
	;; [unrolled: 1-line block ×4, first 2 shown]
	v_fma_f32 v16, v16, v26, 1.0
	v_fmaak_f32 v18, v15, v18, 0x4353b052
	v_fma_f32 v19, v15, v19, 1.0
	v_fma_f32 v20, v15, v20, 1.0
	v_fmaak_f32 v21, v15, v21, 0x43a80bfb
	v_cmp_eq_u32_e64 s7, 0, v14
	v_fmaak_f32 v15, v15, v18, 0x41c9a7fa
	v_lshlrev_b32_e32 v9, 30, v9
	v_div_scale_f32 v18, null, v19, v19, v20
	v_div_scale_f32 v32, vcc_lo, v20, v19, v20
	v_div_scale_f32 v27, null, v21, v21, v15
	v_rcp_f32_e32 v22, v18
	v_fmac_f32_e32 v10, v10, v25
	v_cndmask_b32_e64 v8, v13, v8, s7
	v_rcp_f32_e32 v28, v27
	v_cmp_eq_u32_e64 s7, 0, v17
	v_and_b32_e32 v9, 0x80000000, v9
	v_add_nc_u32_e32 v25, -1, v29
	v_cndmask_b32_e64 v10, -v10, v16, s7
	v_fma_f32 v30, -v18, v22, 1.0
	v_fma_f32 v13, -v25, v29, v6
	v_xor3_b32 v5, v5, v9, v8
	v_fma_f32 v31, -v27, v28, 1.0
	v_xor_b32_e32 v10, v12, v10
	v_fmac_f32_e32 v22, v30, v22
	v_div_scale_f32 v30, s5, v15, v21, v15
	v_fmac_f32_e32 v28, v31, v28
	v_add_nc_u32_e32 v31, 1, v29
	v_mul_f32_e32 v23, v32, v22
	v_mul_f32_e32 v24, v30, v28
	v_fma_f32 v14, -v31, v29, v6
	v_fma_f32 v26, -v18, v23, v32
	;; [unrolled: 1-line block ×3, first 2 shown]
	v_fmac_f32_e32 v23, v26, v22
	v_fmac_f32_e32 v24, v33, v28
	v_fma_f32 v16, -v18, v23, v32
	v_fma_f32 v8, -v27, v24, v30
	v_div_fmas_f32 v9, v16, v22, v23
	s_mov_b32 vcc_lo, s5
	v_cmp_ge_f32_e64 s5, 0, v13
	v_div_fmas_f32 v8, v8, v28, v24
	v_cmp_class_f32_e64 vcc_lo, v4, 0x1f8
	v_div_fixup_f32 v9, v9, v19, v20
	v_cndmask_b32_e64 v4, v29, v25, s5
	v_div_fixup_f32 v8, v8, v21, v15
	v_cmp_lt_f32_e64 s5, 0, v14
	v_cndmask_b32_e32 v10, 0x7fc00000, v10, vcc_lo
	v_cndmask_b32_e32 v5, 0x7fc00000, v5, vcc_lo
	v_cmp_class_f32_e64 vcc_lo, v6, 0x260
	v_mul_f32_e32 v8, v11, v8
	v_cndmask_b32_e64 v4, v4, v31, s5
	v_mul_f32_e32 v8, v8, v10
	v_mul_f32_e32 v11, 0x37800000, v4
	v_fmac_f32_e32 v8, v9, v5
	v_cndmask_b32_e64 v4, v4, v11, s4
	v_mul_f32_e32 v5, 0x3f4c422a, v8
	v_cndmask_b32_e32 v4, v4, v6, vcc_lo
	v_div_scale_f32 v6, null, v4, v4, v5
	v_rcp_f32_e32 v8, v6
	v_fma_f32 v9, -v6, v8, 1.0
	v_fmac_f32_e32 v8, v9, v8
	v_div_scale_f32 v9, vcc_lo, v5, v4, v5
	v_mul_f32_e32 v10, v9, v8
	v_fma_f32 v11, -v6, v10, v9
	v_fmac_f32_e32 v10, v11, v8
	v_fma_f32 v6, -v6, v10, v9
	v_div_fmas_f32 v6, v6, v8, v10
	v_div_fixup_f32 v4, v6, v4, v5
.LBB17_35:
	s_or_b32 exec_lo, exec_lo, s15
                                        ; implicit-def: $vgpr5
	s_mov_b32 s4, exec_lo
	s_waitcnt vmcnt(0)
	v_cmpx_ge_f32_e32 0x40a00000, v1
	s_xor_b32 s15, exec_lo, s4
	s_cbranch_execz .LBB17_41
; %bb.36:
	v_mov_b32_e32 v5, 0xff800000
	s_mov_b32 s16, exec_lo
	v_cmpx_neq_f32_e32 0, v1
	s_cbranch_execz .LBB17_40
; %bb.37:
	v_mov_b32_e32 v5, 0x7fc00000
	s_mov_b32 s17, exec_lo
	v_cmpx_nge_f32_e32 0, v1
	s_cbranch_execz .LBB17_39
; %bb.38:
	v_mul_f32_e32 v5, v1, v1
	v_cmp_gt_f32_e64 s4, 0x800000, v1
	v_div_scale_f32 v15, null, v1, v1, -1.0
	v_div_scale_f32 v24, s7, -1.0, v1, -1.0
	v_fmaak_f32 v6, 0, v5, 0x4414934d
	v_fmaak_f32 v8, 0, v5, 0x441b3589
	;; [unrolled: 1-line block ×4, first 2 shown]
	v_cndmask_b32_e64 v14, 0, 32, s4
	v_fmaak_f32 v6, v5, v6, 0x48660b06
	v_fmaak_f32 v8, v5, v8, 0x487af6d0
	;; [unrolled: 1-line block ×4, first 2 shown]
	v_rcp_f32_e32 v16, v15
	v_fmaak_f32 v6, v5, v6, 0x4c8c277d
	v_fmaak_f32 v8, v5, v8, 0x4c9f4aa7
	;; [unrolled: 1-line block ×4, first 2 shown]
	v_ldexp_f32 v14, v1, v14
	v_fmaak_f32 v6, v5, v6, 0x508bc61d
	v_fmaak_f32 v8, v5, v8, 0x50a509fc
	;; [unrolled: 1-line block ×4, first 2 shown]
	v_log_f32_e32 v14, v14
	v_fmaak_f32 v6, v5, v6, 0x5461faf8
	v_fmaak_f32 v8, v5, v8, 0x548a37dc
	;; [unrolled: 1-line block ×3, first 2 shown]
	v_fma_f32 v21, -v15, v16, 1.0
	v_fmaak_f32 v6, v5, v6, 0x580d1937
	v_fmaak_f32 v8, v5, v8, 0x58325852
	;; [unrolled: 1-line block ×3, first 2 shown]
	v_fmac_f32_e32 v16, v21, v16
	v_mul_f32_e32 v25, 0x3f317217, v14
	v_fmaak_f32 v6, v5, v6, 0x5b741f1e
	v_fmaak_f32 v8, v5, v8, 0x5b9f0600
	v_fma_f32 v21, 0x3f317217, v14, -v25
	v_fmaak_f32 v6, v5, v6, 0x5e5c878d
	v_fmaak_f32 v5, v5, v8, 0x5e93bcac
	v_div_scale_f32 v8, null, v6, v6, v9
	v_div_scale_f32 v11, null, v5, v5, v10
	v_div_scale_f32 v19, vcc_lo, v9, v6, v9
	v_rcp_f32_e32 v12, v8
	v_rcp_f32_e32 v13, v11
	v_div_scale_f32 v20, s5, v10, v5, v10
	v_fma_f32 v17, -v8, v12, 1.0
	v_fma_f32 v18, -v11, v13, 1.0
	v_fmac_f32_e32 v12, v17, v12
	v_fmac_f32_e32 v13, v18, v13
	v_mul_f32_e32 v17, v19, v12
	v_mul_f32_e32 v18, v20, v13
	v_fma_f32 v22, -v8, v17, v19
	v_fma_f32 v23, -v11, v18, v20
	v_fmac_f32_e32 v17, v22, v12
	v_fmac_f32_e32 v18, v23, v13
	v_fma_f32 v8, -v8, v17, v19
	v_mul_f32_e32 v19, v24, v16
	v_fma_f32 v11, -v11, v18, v20
	v_div_fmas_f32 v8, v8, v12, v17
	s_mov_b32 vcc_lo, s5
	v_fma_f32 v12, -v15, v19, v24
	v_div_fmas_f32 v11, v11, v13, v18
	v_fmamk_f32 v13, v14, 0x3377d1cf, v21
	v_cmp_gt_f32_e64 vcc_lo, 0x7f800000, |v14|
	v_div_fixup_f32 v6, v8, v6, v9
	v_fmac_f32_e32 v19, v12, v16
	v_div_fixup_f32 v5, v11, v5, v10
	v_fmac_f32_e32 v13, 0x3f317217, v14
	v_fmaak_f32 v10, v1, v1, 0xc16ae95a
	v_fmaak_f32 v11, v1, v1, 0xc244dfb3
	v_fma_f32 v15, -v15, v19, v24
	v_mul_f32_e32 v5, v1, v5
	v_cndmask_b32_e32 v13, v14, v13, vcc_lo
	s_mov_b32 vcc_lo, s7
	v_cndmask_b32_e64 v12, 0, 0x41b17218, s4
	v_mul_f32_e32 v5, v10, v5
	v_div_fmas_f32 v10, v15, v16, v19
	v_sub_f32_e32 v12, v13, v12
	v_mul_f32_e32 v5, v11, v5
	v_div_fixup_f32 v10, v10, v1, -1.0
	v_fmac_f32_e32 v10, v12, v5
	v_mul_f32_e32 v5, 0x3f22f983, v10
	v_fmac_f32_e32 v5, v1, v6
.LBB17_39:
	s_or_b32 exec_lo, exec_lo, s17
.LBB17_40:
	s_or_b32 exec_lo, exec_lo, s16
.LBB17_41:
	s_andn2_saveexec_b32 s15, s15
	s_cbranch_execz .LBB17_51
; %bb.42:
	v_add_f32_e32 v5, 0xc016cbe4, v1
                                        ; implicit-def: $vgpr9
                                        ; implicit-def: $vgpr8
	v_and_b32_e32 v6, 0x7fffffff, v5
	v_cmp_ngt_f32_e64 s7, 0x48000000, |v5|
	v_lshrrev_b32_e32 v11, 23, v6
	s_and_saveexec_b32 s4, s7
	s_xor_b32 s16, exec_lo, s4
	s_cbranch_execz .LBB17_44
; %bb.43:
	s_mov_b32 s4, 0x7fffff
	v_mov_b32_e32 v10, 0
	v_and_or_b32 v18, v6, s4, 0x800000
	v_add_nc_u32_e32 v17, 0xffffff88, v11
	v_mad_u64_u32 v[8:9], null, 0xfe5163ab, v18, 0
	v_cmp_lt_u32_e32 vcc_lo, 63, v17
	v_cndmask_b32_e64 v19, 0, 0xffffffc0, vcc_lo
	v_mad_u64_u32 v[12:13], null, 0x3c439041, v18, v[9:10]
	v_add_nc_u32_e32 v19, v19, v17
	v_mov_b32_e32 v9, v13
	v_cmp_lt_u32_e64 s4, 31, v19
	v_mad_u64_u32 v[13:14], null, 0xdb629599, v18, v[9:10]
	v_cndmask_b32_e64 v20, 0, 0xffffffe0, s4
	v_mov_b32_e32 v9, v14
	v_cndmask_b32_e32 v8, v13, v8, vcc_lo
	v_mad_u64_u32 v[14:15], null, 0xf534ddc0, v18, v[9:10]
	v_mov_b32_e32 v9, v15
	v_cndmask_b32_e32 v12, v14, v12, vcc_lo
	v_mad_u64_u32 v[15:16], null, 0xfc2757d1, v18, v[9:10]
	v_cndmask_b32_e64 v8, v12, v8, s4
	v_mov_b32_e32 v9, v16
	v_mad_u64_u32 v[16:17], null, 0x4e441529, v18, v[9:10]
	v_mov_b32_e32 v9, v17
	v_add_nc_u32_e32 v17, v20, v19
	v_cndmask_b32_e32 v19, v16, v14, vcc_lo
	v_mad_u64_u32 v[9:10], null, 0xa2f9836e, v18, v[9:10]
	v_cmp_lt_u32_e64 s5, 31, v17
	v_cndmask_b32_e64 v18, 0, 0xffffffe0, s5
	v_cndmask_b32_e32 v9, v9, v15, vcc_lo
	v_cndmask_b32_e32 v10, v10, v16, vcc_lo
	;; [unrolled: 1-line block ×3, first 2 shown]
	v_add_nc_u32_e32 v16, v18, v17
	v_cndmask_b32_e64 v14, v9, v19, s4
	v_cndmask_b32_e64 v9, v10, v9, s4
	;; [unrolled: 1-line block ×4, first 2 shown]
	v_sub_nc_u32_e32 v17, 32, v16
	v_cmp_eq_u32_e32 vcc_lo, 0, v16
	v_cndmask_b32_e64 v9, v9, v14, s5
	v_cndmask_b32_e64 v14, v14, v10, s5
	;; [unrolled: 1-line block ×4, first 2 shown]
	v_alignbit_b32 v18, v9, v14, v17
	v_alignbit_b32 v13, v14, v10, v17
	;; [unrolled: 1-line block ×3, first 2 shown]
	v_cndmask_b32_e32 v9, v18, v9, vcc_lo
	v_cndmask_b32_e32 v12, v13, v14, vcc_lo
	;; [unrolled: 1-line block ×3, first 2 shown]
	v_bfe_u32 v13, v9, 29, 1
	v_alignbit_b32 v14, v9, v12, 30
	v_alignbit_b32 v12, v12, v10, 30
	;; [unrolled: 1-line block ×3, first 2 shown]
	v_sub_nc_u32_e32 v15, 0, v13
	v_xor_b32_e32 v14, v14, v15
	v_xor_b32_e32 v10, v12, v15
	;; [unrolled: 1-line block ×3, first 2 shown]
	v_lshrrev_b32_e32 v15, 29, v9
	v_lshrrev_b32_e32 v9, 30, v9
	v_ffbh_u32_e32 v16, v14
	v_add_nc_u32_e32 v9, v13, v9
	v_min_u32_e32 v16, 32, v16
	v_sub_nc_u32_e32 v12, 31, v16
	v_lshlrev_b32_e32 v17, 23, v16
	v_alignbit_b32 v14, v14, v10, v12
	v_alignbit_b32 v8, v10, v8, v12
	v_lshlrev_b32_e32 v10, 31, v15
	v_alignbit_b32 v12, v14, v8, 9
	v_or_b32_e32 v15, 0.5, v10
	v_lshrrev_b32_e32 v14, 9, v14
	v_or_b32_e32 v10, 0x33000000, v10
	v_ffbh_u32_e32 v18, v12
	v_sub_nc_u32_e32 v15, v15, v17
	v_min_u32_e32 v17, 32, v18
	v_or_b32_e32 v14, v14, v15
	v_not_b32_e32 v15, v17
	v_mul_f32_e32 v18, 0x3fc90fda, v14
	v_add_lshl_u32 v16, v17, v16, 23
	v_alignbit_b32 v8, v12, v8, v15
	v_fma_f32 v12, 0x3fc90fda, v14, -v18
	v_sub_nc_u32_e32 v10, v10, v16
	v_lshrrev_b32_e32 v8, 9, v8
	v_fmamk_f32 v12, v14, 0x33a22168, v12
	v_or_b32_e32 v8, v10, v8
	v_fmac_f32_e32 v12, 0x3fc90fda, v8
	v_add_f32_e32 v8, v18, v12
	s_or_saveexec_b32 s4, s16
	v_mul_f32_e64 v13, 0x3f22f983, |v5|
	s_xor_b32 exec_lo, exec_lo, s4
	s_branch .LBB17_45
.LBB17_44:
	s_or_saveexec_b32 s4, s16
	v_mul_f32_e64 v13, 0x3f22f983, |v5|
	s_xor_b32 exec_lo, exec_lo, s4
.LBB17_45:
	v_rndne_f32_e32 v9, v13
	v_fma_f32 v8, 0xbfc90fda, v9, |v5|
	v_fmamk_f32 v8, v9, 0xb3a22168, v8
	v_fmamk_f32 v8, v9, 0xa7c234c4, v8
	v_cvt_i32_f32_e32 v9, v9
; %bb.46:
	s_or_b32 exec_lo, exec_lo, s4
                                        ; implicit-def: $vgpr12
                                        ; implicit-def: $vgpr10
	s_and_saveexec_b32 s4, s7
	s_xor_b32 s7, exec_lo, s4
	s_cbranch_execz .LBB17_48
; %bb.47:
	s_mov_b32 s4, 0x7fffff
	v_mov_b32_e32 v14, 0
	v_and_or_b32 v20, v6, s4, 0x800000
	v_mad_u64_u32 v[12:13], null, 0xfe5163ab, v20, 0
	v_mad_u64_u32 v[15:16], null, 0x3c439041, v20, v[13:14]
	v_mov_b32_e32 v13, v16
	v_mad_u64_u32 v[16:17], null, 0xdb629599, v20, v[13:14]
	v_mov_b32_e32 v13, v17
	;; [unrolled: 2-line block ×3, first 2 shown]
	v_add_nc_u32_e32 v18, 0xffffff88, v11
	v_mad_u64_u32 v[10:11], null, 0xfc2757d1, v20, v[13:14]
	v_cmp_lt_u32_e32 vcc_lo, 63, v18
	v_cndmask_b32_e64 v19, 0, 0xffffffc0, vcc_lo
	v_mov_b32_e32 v13, v11
	v_cndmask_b32_e32 v15, v17, v15, vcc_lo
	v_cndmask_b32_e32 v12, v16, v12, vcc_lo
	v_add_nc_u32_e32 v11, v19, v18
	v_mad_u64_u32 v[18:19], null, 0x4e441529, v20, v[13:14]
	v_cmp_lt_u32_e64 s4, 31, v11
	v_mov_b32_e32 v13, v19
	v_cndmask_b32_e64 v21, 0, 0xffffffe0, s4
	v_cndmask_b32_e64 v12, v15, v12, s4
	v_mad_u64_u32 v[13:14], null, 0xa2f9836e, v20, v[13:14]
	v_add_nc_u32_e32 v11, v21, v11
	v_cndmask_b32_e32 v20, v18, v17, vcc_lo
	v_cmp_lt_u32_e64 s5, 31, v11
	v_cndmask_b32_e32 v13, v13, v10, vcc_lo
	v_cndmask_b32_e32 v14, v14, v18, vcc_lo
	;; [unrolled: 1-line block ×3, first 2 shown]
	v_cndmask_b32_e64 v19, 0, 0xffffffe0, s5
	v_cndmask_b32_e64 v17, v13, v20, s4
	;; [unrolled: 1-line block ×5, first 2 shown]
	v_add_nc_u32_e32 v11, v19, v11
	v_cndmask_b32_e64 v13, v13, v17, s5
	v_cndmask_b32_e64 v17, v17, v14, s5
	;; [unrolled: 1-line block ×3, first 2 shown]
	v_sub_nc_u32_e32 v18, 32, v11
	v_cmp_eq_u32_e32 vcc_lo, 0, v11
	v_cndmask_b32_e64 v10, v10, v12, s5
	v_alignbit_b32 v19, v13, v17, v18
	v_alignbit_b32 v16, v17, v14, v18
	v_cndmask_b32_e32 v11, v19, v13, vcc_lo
	v_cndmask_b32_e32 v13, v16, v17, vcc_lo
	v_alignbit_b32 v17, v14, v10, v18
	v_bfe_u32 v15, v11, 29, 1
	v_alignbit_b32 v12, v11, v13, 30
	v_cndmask_b32_e32 v14, v17, v14, vcc_lo
	v_sub_nc_u32_e32 v16, 0, v15
	v_alignbit_b32 v13, v13, v14, 30
	v_alignbit_b32 v10, v14, v10, 30
	v_xor_b32_e32 v12, v12, v16
	v_xor_b32_e32 v13, v13, v16
	;; [unrolled: 1-line block ×3, first 2 shown]
	v_lshrrev_b32_e32 v16, 29, v11
	v_ffbh_u32_e32 v17, v12
	v_lshrrev_b32_e32 v11, 30, v11
	v_min_u32_e32 v17, 32, v17
	v_sub_nc_u32_e32 v14, 31, v17
	v_lshlrev_b32_e32 v18, 23, v17
	v_alignbit_b32 v12, v12, v13, v14
	v_alignbit_b32 v10, v13, v10, v14
	v_lshlrev_b32_e32 v13, 31, v16
	v_alignbit_b32 v14, v12, v10, 9
	v_or_b32_e32 v16, 0.5, v13
	v_lshrrev_b32_e32 v12, 9, v12
	v_or_b32_e32 v13, 0x33000000, v13
	v_ffbh_u32_e32 v19, v14
	v_sub_nc_u32_e32 v16, v16, v18
	v_min_u32_e32 v18, 32, v19
	v_or_b32_e32 v12, v12, v16
	v_not_b32_e32 v16, v18
	v_mul_f32_e32 v19, 0x3fc90fda, v12
	v_add_lshl_u32 v17, v18, v17, 23
	v_alignbit_b32 v10, v14, v10, v16
	v_fma_f32 v14, 0x3fc90fda, v12, -v19
	v_sub_nc_u32_e32 v13, v13, v17
	v_lshrrev_b32_e32 v10, 9, v10
	v_fmamk_f32 v12, v12, 0x33a22168, v14
	v_or_b32_e32 v10, v13, v10
                                        ; implicit-def: $vgpr13
	v_fmac_f32_e32 v12, 0x3fc90fda, v10
	v_add_f32_e32 v10, v19, v12
	v_add_nc_u32_e32 v12, v15, v11
	s_andn2_saveexec_b32 s4, s7
	s_cbranch_execnz .LBB17_49
	s_branch .LBB17_50
.LBB17_48:
	s_andn2_saveexec_b32 s4, s7
.LBB17_49:
	v_rndne_f32_e32 v11, v13
	v_fma_f32 v10, 0xbfc90fda, v11, |v5|
	v_cvt_i32_f32_e32 v12, v11
	v_fmamk_f32 v10, v11, 0xb3a22168, v10
	v_fmamk_f32 v10, v11, 0xa7c234c4, v10
.LBB17_50:
	s_or_b32 exec_lo, exec_lo, s4
	v_div_scale_f32 v11, null, v1, v1, 0x40a00000
	v_div_scale_f32 v15, vcc_lo, 0x40a00000, v1, 0x40a00000
	s_mov_b32 s4, 0xb94c1982
	v_rcp_f32_e32 v13, v11
	v_mul_f32_e32 v22, 0x4f800000, v1
	s_mov_b32 s5, 0x37d75334
	v_and_b32_e32 v17, 1, v12
	v_xor_b32_e32 v6, v6, v5
	v_lshlrev_b32_e32 v12, 30, v12
	v_and_b32_e32 v12, 0x80000000, v12
	v_fma_f32 v14, -v11, v13, 1.0
	v_fmac_f32_e32 v13, v14, v13
	v_mul_f32_e32 v14, v15, v13
	v_fma_f32 v16, -v11, v14, v15
	v_fmac_f32_e32 v14, v16, v13
	v_mul_f32_e32 v16, v10, v10
	v_fma_f32 v11, -v11, v14, v15
	v_fmaak_f32 v25, s4, v16, 0x3c0881c4
	v_fmaak_f32 v26, s5, v16, 0xbab64f3b
	v_div_fmas_f32 v11, v11, v13, v14
	v_mul_f32_e32 v13, v8, v8
	v_fmaak_f32 v26, v16, v26, 0x3d2aabf7
	v_and_b32_e32 v14, 1, v9
	v_fmaak_f32 v25, v16, v25, 0xbe2aaa9d
	v_div_fixup_f32 v11, v11, v1, 0x40a00000
	v_fmaak_f32 v23, s4, v13, 0x3c0881c4
	v_cmp_gt_f32_e64 s4, 0xf800000, v1
	v_fmaak_f32 v24, s5, v13, 0xbab64f3b
	v_fmaak_f32 v26, v16, v26, 0xbf000004
	v_mul_f32_e32 v15, v11, v11
	v_fmaak_f32 v23, v13, v23, 0xbe2aaa9d
	v_cndmask_b32_e64 v1, v1, v22, s4
	v_fmaak_f32 v24, v13, v24, 0x3d2aabf7
	v_mul_f32_e32 v25, v16, v25
	v_fmaak_f32 v18, 0, v15, 0x3d513fd3
	v_fmaak_f32 v19, 0, v15, 0x3a15c4d9
	;; [unrolled: 1-line block ×4, first 2 shown]
	v_mul_f32_e32 v23, v13, v23
	v_fmaak_f32 v18, v15, v18, 0x409f6dae
	v_fmaak_f32 v19, v15, v19, 0x3d8cfeeb
	;; [unrolled: 1-line block ×9, first 2 shown]
	v_fmac_f32_e32 v8, v8, v23
	v_fmaak_f32 v18, v15, v18, 0x43b763ca
	v_fmaak_f32 v19, v15, v19, 0x40a25d18
	;; [unrolled: 1-line block ×4, first 2 shown]
	v_sqrt_f32_e32 v29, v1
	v_fmaak_f32 v18, v15, v18, 0x4431b6ce
	v_fmaak_f32 v19, v15, v19, 0x410665cf
	;; [unrolled: 1-line block ×4, first 2 shown]
	v_fma_f32 v13, v13, v24, 1.0
	v_fmaak_f32 v18, v15, v18, 0x44155f56
	v_fmaak_f32 v19, v15, v19, 0x40a6b6ea
	;; [unrolled: 1-line block ×4, first 2 shown]
	v_fma_f32 v16, v16, v26, 1.0
	v_fmaak_f32 v18, v15, v18, 0x4353b052
	v_fma_f32 v19, v15, v19, 1.0
	v_fma_f32 v20, v15, v20, 1.0
	v_fmaak_f32 v21, v15, v21, 0x43a80bfb
	v_cmp_eq_u32_e64 s7, 0, v14
	v_fmaak_f32 v15, v15, v18, 0x41c9a7fa
	v_lshlrev_b32_e32 v9, 30, v9
	v_div_scale_f32 v18, null, v19, v19, v20
	v_div_scale_f32 v32, vcc_lo, v20, v19, v20
	v_div_scale_f32 v27, null, v21, v21, v15
	v_rcp_f32_e32 v22, v18
	v_fmac_f32_e32 v10, v10, v25
	v_cndmask_b32_e64 v8, v13, v8, s7
	v_rcp_f32_e32 v28, v27
	v_cmp_eq_u32_e64 s7, 0, v17
	v_and_b32_e32 v9, 0x80000000, v9
	v_add_nc_u32_e32 v25, -1, v29
	v_cndmask_b32_e64 v10, -v10, v16, s7
	v_fma_f32 v30, -v18, v22, 1.0
	v_fma_f32 v13, -v25, v29, v1
	v_xor3_b32 v6, v6, v9, v8
	v_fma_f32 v31, -v27, v28, 1.0
	v_xor_b32_e32 v10, v12, v10
	v_fmac_f32_e32 v22, v30, v22
	v_div_scale_f32 v30, s5, v15, v21, v15
	v_fmac_f32_e32 v28, v31, v28
	v_add_nc_u32_e32 v31, 1, v29
	v_mul_f32_e32 v23, v32, v22
	v_mul_f32_e32 v24, v30, v28
	v_fma_f32 v14, -v31, v29, v1
	v_fma_f32 v26, -v18, v23, v32
	;; [unrolled: 1-line block ×3, first 2 shown]
	v_fmac_f32_e32 v23, v26, v22
	v_fmac_f32_e32 v24, v33, v28
	v_fma_f32 v16, -v18, v23, v32
	v_fma_f32 v8, -v27, v24, v30
	v_div_fmas_f32 v9, v16, v22, v23
	s_mov_b32 vcc_lo, s5
	v_cmp_ge_f32_e64 s5, 0, v13
	v_div_fmas_f32 v8, v8, v28, v24
	v_cmp_class_f32_e64 vcc_lo, v5, 0x1f8
	v_div_fixup_f32 v9, v9, v19, v20
	v_cndmask_b32_e64 v5, v29, v25, s5
	v_div_fixup_f32 v8, v8, v21, v15
	v_cmp_lt_f32_e64 s5, 0, v14
	v_cndmask_b32_e32 v10, 0x7fc00000, v10, vcc_lo
	v_cndmask_b32_e32 v6, 0x7fc00000, v6, vcc_lo
	v_cmp_class_f32_e64 vcc_lo, v1, 0x260
	v_mul_f32_e32 v8, v11, v8
	v_cndmask_b32_e64 v5, v5, v31, s5
	v_mul_f32_e32 v8, v8, v10
	v_mul_f32_e32 v11, 0x37800000, v5
	v_fmac_f32_e32 v8, v9, v6
	v_cndmask_b32_e64 v5, v5, v11, s4
	v_cndmask_b32_e32 v1, v5, v1, vcc_lo
	v_mul_f32_e32 v5, 0x3f4c422a, v8
	v_div_scale_f32 v6, null, v1, v1, v5
	v_rcp_f32_e32 v8, v6
	v_fma_f32 v9, -v6, v8, 1.0
	v_fmac_f32_e32 v8, v9, v8
	v_div_scale_f32 v9, vcc_lo, v5, v1, v5
	v_mul_f32_e32 v10, v9, v8
	v_fma_f32 v11, -v6, v10, v9
	v_fmac_f32_e32 v10, v11, v8
	v_fma_f32 v6, -v6, v10, v9
	v_div_fmas_f32 v6, v6, v8, v10
	v_div_fixup_f32 v5, v6, v1, v5
.LBB17_51:
	s_or_b32 exec_lo, exec_lo, s15
	s_mov_b32 s4, exec_lo
	v_cmpx_ge_f32_e32 0x40a00000, v2
	s_xor_b32 s15, exec_lo, s4
	s_cbranch_execz .LBB17_57
; %bb.52:
	v_mov_b32_e32 v6, 0xff800000
	s_mov_b32 s16, exec_lo
	v_cmpx_neq_f32_e32 0, v2
	s_cbranch_execz .LBB17_56
; %bb.53:
	v_mov_b32_e32 v6, 0x7fc00000
	s_mov_b32 s17, exec_lo
	v_cmpx_nge_f32_e32 0, v2
	s_cbranch_execz .LBB17_55
; %bb.54:
	v_mul_f32_e32 v1, v2, v2
	v_cmp_gt_f32_e64 s4, 0x800000, v2
	v_div_scale_f32 v15, null, v2, v2, -1.0
	v_div_scale_f32 v24, s7, -1.0, v2, -1.0
	v_fmaak_f32 v6, 0, v1, 0x4414934d
	v_fmaak_f32 v8, 0, v1, 0x441b3589
	;; [unrolled: 1-line block ×4, first 2 shown]
	v_cndmask_b32_e64 v14, 0, 32, s4
	v_fmaak_f32 v6, v1, v6, 0x48660b06
	v_fmaak_f32 v8, v1, v8, 0x487af6d0
	;; [unrolled: 1-line block ×4, first 2 shown]
	v_rcp_f32_e32 v16, v15
	v_fmaak_f32 v6, v1, v6, 0x4c8c277d
	v_fmaak_f32 v8, v1, v8, 0x4c9f4aa7
	;; [unrolled: 1-line block ×4, first 2 shown]
	v_ldexp_f32 v14, v2, v14
	v_fmaak_f32 v6, v1, v6, 0x508bc61d
	v_fmaak_f32 v8, v1, v8, 0x50a509fc
	;; [unrolled: 1-line block ×4, first 2 shown]
	v_log_f32_e32 v14, v14
	v_fmaak_f32 v6, v1, v6, 0x5461faf8
	v_fmaak_f32 v8, v1, v8, 0x548a37dc
	;; [unrolled: 1-line block ×3, first 2 shown]
	v_fma_f32 v21, -v15, v16, 1.0
	v_fmaak_f32 v6, v1, v6, 0x580d1937
	v_fmaak_f32 v8, v1, v8, 0x58325852
	;; [unrolled: 1-line block ×3, first 2 shown]
	v_fmac_f32_e32 v16, v21, v16
	v_mul_f32_e32 v25, 0x3f317217, v14
	v_fmaak_f32 v6, v1, v6, 0x5b741f1e
	v_fmaak_f32 v8, v1, v8, 0x5b9f0600
	v_fma_f32 v21, 0x3f317217, v14, -v25
	v_fmaak_f32 v6, v1, v6, 0x5e5c878d
	v_fmaak_f32 v1, v1, v8, 0x5e93bcac
	v_div_scale_f32 v8, null, v6, v6, v9
	v_div_scale_f32 v11, null, v1, v1, v10
	v_div_scale_f32 v19, vcc_lo, v9, v6, v9
	v_rcp_f32_e32 v12, v8
	v_rcp_f32_e32 v13, v11
	v_div_scale_f32 v20, s5, v10, v1, v10
	v_fma_f32 v17, -v8, v12, 1.0
	v_fma_f32 v18, -v11, v13, 1.0
	v_fmac_f32_e32 v12, v17, v12
	v_fmac_f32_e32 v13, v18, v13
	v_mul_f32_e32 v17, v19, v12
	v_mul_f32_e32 v18, v20, v13
	v_fma_f32 v22, -v8, v17, v19
	v_fma_f32 v23, -v11, v18, v20
	v_fmac_f32_e32 v17, v22, v12
	v_fmac_f32_e32 v18, v23, v13
	v_fma_f32 v8, -v8, v17, v19
	v_mul_f32_e32 v19, v24, v16
	v_fma_f32 v11, -v11, v18, v20
	v_div_fmas_f32 v8, v8, v12, v17
	s_mov_b32 vcc_lo, s5
	v_fma_f32 v12, -v15, v19, v24
	v_div_fmas_f32 v11, v11, v13, v18
	v_fmamk_f32 v13, v14, 0x3377d1cf, v21
	v_cmp_gt_f32_e64 vcc_lo, 0x7f800000, |v14|
	v_fmac_f32_e32 v19, v12, v16
	v_div_fixup_f32 v1, v11, v1, v10
	v_fmac_f32_e32 v13, 0x3f317217, v14
	v_fmaak_f32 v10, v2, v2, 0xc16ae95a
	v_fmaak_f32 v11, v2, v2, 0xc244dfb3
	v_fma_f32 v15, -v15, v19, v24
	v_mul_f32_e32 v1, v2, v1
	v_cndmask_b32_e32 v13, v14, v13, vcc_lo
	s_mov_b32 vcc_lo, s7
	v_cndmask_b32_e64 v12, 0, 0x41b17218, s4
	v_mul_f32_e32 v1, v10, v1
	v_div_fmas_f32 v10, v15, v16, v19
	v_sub_f32_e32 v12, v13, v12
	v_mul_f32_e32 v1, v11, v1
	v_div_fixup_f32 v10, v10, v2, -1.0
	v_fmac_f32_e32 v10, v12, v1
	v_div_fixup_f32 v1, v8, v6, v9
	v_mul_f32_e32 v6, 0x3f22f983, v10
	v_fmac_f32_e32 v6, v2, v1
.LBB17_55:
	s_or_b32 exec_lo, exec_lo, s17
.LBB17_56:
	s_or_b32 exec_lo, exec_lo, s16
                                        ; implicit-def: $vgpr1_vgpr2
.LBB17_57:
	s_andn2_saveexec_b32 s15, s15
	s_cbranch_execz .LBB17_67
; %bb.58:
	v_add_f32_e32 v1, 0xc016cbe4, v2
                                        ; implicit-def: $vgpr9
                                        ; implicit-def: $vgpr8
	v_and_b32_e32 v6, 0x7fffffff, v1
	v_cmp_ngt_f32_e64 s7, 0x48000000, |v1|
	v_lshrrev_b32_e32 v11, 23, v6
	s_and_saveexec_b32 s4, s7
	s_xor_b32 s16, exec_lo, s4
	s_cbranch_execz .LBB17_60
; %bb.59:
	s_mov_b32 s4, 0x7fffff
	v_mov_b32_e32 v10, 0
	v_and_or_b32 v18, v6, s4, 0x800000
	v_add_nc_u32_e32 v17, 0xffffff88, v11
	v_mad_u64_u32 v[8:9], null, 0xfe5163ab, v18, 0
	v_cmp_lt_u32_e32 vcc_lo, 63, v17
	v_cndmask_b32_e64 v19, 0, 0xffffffc0, vcc_lo
	v_mad_u64_u32 v[12:13], null, 0x3c439041, v18, v[9:10]
	v_add_nc_u32_e32 v19, v19, v17
	v_mov_b32_e32 v9, v13
	v_cmp_lt_u32_e64 s4, 31, v19
	v_mad_u64_u32 v[13:14], null, 0xdb629599, v18, v[9:10]
	v_cndmask_b32_e64 v20, 0, 0xffffffe0, s4
	v_mov_b32_e32 v9, v14
	v_cndmask_b32_e32 v8, v13, v8, vcc_lo
	v_mad_u64_u32 v[14:15], null, 0xf534ddc0, v18, v[9:10]
	v_mov_b32_e32 v9, v15
	v_cndmask_b32_e32 v12, v14, v12, vcc_lo
	v_mad_u64_u32 v[15:16], null, 0xfc2757d1, v18, v[9:10]
	v_cndmask_b32_e64 v8, v12, v8, s4
	v_mov_b32_e32 v9, v16
	v_mad_u64_u32 v[16:17], null, 0x4e441529, v18, v[9:10]
	v_mov_b32_e32 v9, v17
	v_add_nc_u32_e32 v17, v20, v19
	v_cndmask_b32_e32 v19, v16, v14, vcc_lo
	v_mad_u64_u32 v[9:10], null, 0xa2f9836e, v18, v[9:10]
	v_cmp_lt_u32_e64 s5, 31, v17
	v_cndmask_b32_e64 v18, 0, 0xffffffe0, s5
	v_cndmask_b32_e32 v9, v9, v15, vcc_lo
	v_cndmask_b32_e32 v10, v10, v16, vcc_lo
	;; [unrolled: 1-line block ×3, first 2 shown]
	v_add_nc_u32_e32 v16, v18, v17
	v_cndmask_b32_e64 v14, v9, v19, s4
	v_cndmask_b32_e64 v9, v10, v9, s4
	v_cndmask_b32_e64 v10, v19, v15, s4
	v_cndmask_b32_e64 v15, v15, v12, s4
	v_sub_nc_u32_e32 v17, 32, v16
	v_cmp_eq_u32_e32 vcc_lo, 0, v16
	v_cndmask_b32_e64 v9, v9, v14, s5
	v_cndmask_b32_e64 v14, v14, v10, s5
	;; [unrolled: 1-line block ×4, first 2 shown]
	v_alignbit_b32 v18, v9, v14, v17
	v_alignbit_b32 v13, v14, v10, v17
	;; [unrolled: 1-line block ×3, first 2 shown]
	v_cndmask_b32_e32 v9, v18, v9, vcc_lo
	v_cndmask_b32_e32 v12, v13, v14, vcc_lo
	v_cndmask_b32_e32 v10, v16, v10, vcc_lo
	v_bfe_u32 v13, v9, 29, 1
	v_alignbit_b32 v14, v9, v12, 30
	v_alignbit_b32 v12, v12, v10, 30
	;; [unrolled: 1-line block ×3, first 2 shown]
	v_sub_nc_u32_e32 v15, 0, v13
	v_xor_b32_e32 v14, v14, v15
	v_xor_b32_e32 v10, v12, v15
	;; [unrolled: 1-line block ×3, first 2 shown]
	v_lshrrev_b32_e32 v15, 29, v9
	v_lshrrev_b32_e32 v9, 30, v9
	v_ffbh_u32_e32 v16, v14
	v_add_nc_u32_e32 v9, v13, v9
	v_min_u32_e32 v16, 32, v16
	v_sub_nc_u32_e32 v12, 31, v16
	v_lshlrev_b32_e32 v17, 23, v16
	v_alignbit_b32 v14, v14, v10, v12
	v_alignbit_b32 v8, v10, v8, v12
	v_lshlrev_b32_e32 v10, 31, v15
	v_alignbit_b32 v12, v14, v8, 9
	v_or_b32_e32 v15, 0.5, v10
	v_lshrrev_b32_e32 v14, 9, v14
	v_or_b32_e32 v10, 0x33000000, v10
	v_ffbh_u32_e32 v18, v12
	v_sub_nc_u32_e32 v15, v15, v17
	v_min_u32_e32 v17, 32, v18
	v_or_b32_e32 v14, v14, v15
	v_not_b32_e32 v15, v17
	v_mul_f32_e32 v18, 0x3fc90fda, v14
	v_add_lshl_u32 v16, v17, v16, 23
	v_alignbit_b32 v8, v12, v8, v15
	v_fma_f32 v12, 0x3fc90fda, v14, -v18
	v_sub_nc_u32_e32 v10, v10, v16
	v_lshrrev_b32_e32 v8, 9, v8
	v_fmamk_f32 v12, v14, 0x33a22168, v12
	v_or_b32_e32 v8, v10, v8
	v_fmac_f32_e32 v12, 0x3fc90fda, v8
	v_add_f32_e32 v8, v18, v12
	s_or_saveexec_b32 s4, s16
	v_mul_f32_e64 v13, 0x3f22f983, |v1|
	s_xor_b32 exec_lo, exec_lo, s4
	s_branch .LBB17_61
.LBB17_60:
	s_or_saveexec_b32 s4, s16
	v_mul_f32_e64 v13, 0x3f22f983, |v1|
	s_xor_b32 exec_lo, exec_lo, s4
.LBB17_61:
	v_rndne_f32_e32 v9, v13
	v_fma_f32 v8, 0xbfc90fda, v9, |v1|
	v_fmamk_f32 v8, v9, 0xb3a22168, v8
	v_fmamk_f32 v8, v9, 0xa7c234c4, v8
	v_cvt_i32_f32_e32 v9, v9
; %bb.62:
	s_or_b32 exec_lo, exec_lo, s4
                                        ; implicit-def: $vgpr12
                                        ; implicit-def: $vgpr10
	s_and_saveexec_b32 s4, s7
	s_xor_b32 s7, exec_lo, s4
	s_cbranch_execz .LBB17_64
; %bb.63:
	s_mov_b32 s4, 0x7fffff
	v_mov_b32_e32 v14, 0
	v_and_or_b32 v20, v6, s4, 0x800000
	v_mad_u64_u32 v[12:13], null, 0xfe5163ab, v20, 0
	v_mad_u64_u32 v[15:16], null, 0x3c439041, v20, v[13:14]
	v_mov_b32_e32 v13, v16
	v_mad_u64_u32 v[16:17], null, 0xdb629599, v20, v[13:14]
	v_mov_b32_e32 v13, v17
	v_mad_u64_u32 v[17:18], null, 0xf534ddc0, v20, v[13:14]
	v_mov_b32_e32 v13, v18
	v_add_nc_u32_e32 v18, 0xffffff88, v11
	v_mad_u64_u32 v[10:11], null, 0xfc2757d1, v20, v[13:14]
	v_cmp_lt_u32_e32 vcc_lo, 63, v18
	v_cndmask_b32_e64 v19, 0, 0xffffffc0, vcc_lo
	v_mov_b32_e32 v13, v11
	v_cndmask_b32_e32 v15, v17, v15, vcc_lo
	v_cndmask_b32_e32 v12, v16, v12, vcc_lo
	v_add_nc_u32_e32 v11, v19, v18
	v_mad_u64_u32 v[18:19], null, 0x4e441529, v20, v[13:14]
	v_cmp_lt_u32_e64 s4, 31, v11
	v_mov_b32_e32 v13, v19
	v_cndmask_b32_e64 v21, 0, 0xffffffe0, s4
	v_cndmask_b32_e64 v12, v15, v12, s4
	v_mad_u64_u32 v[13:14], null, 0xa2f9836e, v20, v[13:14]
	v_add_nc_u32_e32 v11, v21, v11
	v_cndmask_b32_e32 v20, v18, v17, vcc_lo
	v_cmp_lt_u32_e64 s5, 31, v11
	v_cndmask_b32_e32 v13, v13, v10, vcc_lo
	v_cndmask_b32_e32 v14, v14, v18, vcc_lo
	;; [unrolled: 1-line block ×3, first 2 shown]
	v_cndmask_b32_e64 v19, 0, 0xffffffe0, s5
	v_cndmask_b32_e64 v17, v13, v20, s4
	;; [unrolled: 1-line block ×5, first 2 shown]
	v_add_nc_u32_e32 v11, v19, v11
	v_cndmask_b32_e64 v13, v13, v17, s5
	v_cndmask_b32_e64 v17, v17, v14, s5
	;; [unrolled: 1-line block ×3, first 2 shown]
	v_sub_nc_u32_e32 v18, 32, v11
	v_cmp_eq_u32_e32 vcc_lo, 0, v11
	v_cndmask_b32_e64 v10, v10, v12, s5
	v_alignbit_b32 v19, v13, v17, v18
	v_alignbit_b32 v16, v17, v14, v18
	v_cndmask_b32_e32 v11, v19, v13, vcc_lo
	v_cndmask_b32_e32 v13, v16, v17, vcc_lo
	v_alignbit_b32 v17, v14, v10, v18
	v_bfe_u32 v15, v11, 29, 1
	v_alignbit_b32 v12, v11, v13, 30
	v_cndmask_b32_e32 v14, v17, v14, vcc_lo
	v_sub_nc_u32_e32 v16, 0, v15
	v_alignbit_b32 v13, v13, v14, 30
	v_alignbit_b32 v10, v14, v10, 30
	v_xor_b32_e32 v12, v12, v16
	v_xor_b32_e32 v13, v13, v16
	v_xor_b32_e32 v10, v10, v16
	v_lshrrev_b32_e32 v16, 29, v11
	v_ffbh_u32_e32 v17, v12
	v_lshrrev_b32_e32 v11, 30, v11
	v_min_u32_e32 v17, 32, v17
	v_sub_nc_u32_e32 v14, 31, v17
	v_lshlrev_b32_e32 v18, 23, v17
	v_alignbit_b32 v12, v12, v13, v14
	v_alignbit_b32 v10, v13, v10, v14
	v_lshlrev_b32_e32 v13, 31, v16
	v_alignbit_b32 v14, v12, v10, 9
	v_or_b32_e32 v16, 0.5, v13
	v_lshrrev_b32_e32 v12, 9, v12
	v_or_b32_e32 v13, 0x33000000, v13
	v_ffbh_u32_e32 v19, v14
	v_sub_nc_u32_e32 v16, v16, v18
	v_min_u32_e32 v18, 32, v19
	v_or_b32_e32 v12, v12, v16
	v_not_b32_e32 v16, v18
	v_mul_f32_e32 v19, 0x3fc90fda, v12
	v_add_lshl_u32 v17, v18, v17, 23
	v_alignbit_b32 v10, v14, v10, v16
	v_fma_f32 v14, 0x3fc90fda, v12, -v19
	v_sub_nc_u32_e32 v13, v13, v17
	v_lshrrev_b32_e32 v10, 9, v10
	v_fmamk_f32 v12, v12, 0x33a22168, v14
	v_or_b32_e32 v10, v13, v10
                                        ; implicit-def: $vgpr13
	v_fmac_f32_e32 v12, 0x3fc90fda, v10
	v_add_f32_e32 v10, v19, v12
	v_add_nc_u32_e32 v12, v15, v11
	s_andn2_saveexec_b32 s4, s7
	s_cbranch_execnz .LBB17_65
	s_branch .LBB17_66
.LBB17_64:
	s_andn2_saveexec_b32 s4, s7
.LBB17_65:
	v_rndne_f32_e32 v11, v13
	v_fma_f32 v10, 0xbfc90fda, v11, |v1|
	v_cvt_i32_f32_e32 v12, v11
	v_fmamk_f32 v10, v11, 0xb3a22168, v10
	v_fmamk_f32 v10, v11, 0xa7c234c4, v10
.LBB17_66:
	s_or_b32 exec_lo, exec_lo, s4
	v_div_scale_f32 v11, null, v2, v2, 0x40a00000
	v_div_scale_f32 v15, vcc_lo, 0x40a00000, v2, 0x40a00000
	s_mov_b32 s4, 0xb94c1982
	v_rcp_f32_e32 v13, v11
	v_mul_f32_e32 v22, 0x4f800000, v2
	s_mov_b32 s5, 0x37d75334
	v_and_b32_e32 v17, 1, v12
	v_xor_b32_e32 v6, v6, v1
	v_lshlrev_b32_e32 v12, 30, v12
	v_and_b32_e32 v12, 0x80000000, v12
	v_fma_f32 v14, -v11, v13, 1.0
	v_fmac_f32_e32 v13, v14, v13
	v_mul_f32_e32 v14, v15, v13
	v_fma_f32 v16, -v11, v14, v15
	v_fmac_f32_e32 v14, v16, v13
	v_mul_f32_e32 v16, v10, v10
	v_fma_f32 v11, -v11, v14, v15
	v_fmaak_f32 v25, s4, v16, 0x3c0881c4
	v_fmaak_f32 v26, s5, v16, 0xbab64f3b
	v_div_fmas_f32 v11, v11, v13, v14
	v_mul_f32_e32 v13, v8, v8
	v_fmaak_f32 v26, v16, v26, 0x3d2aabf7
	v_and_b32_e32 v14, 1, v9
	v_fmaak_f32 v25, v16, v25, 0xbe2aaa9d
	v_div_fixup_f32 v11, v11, v2, 0x40a00000
	v_fmaak_f32 v23, s4, v13, 0x3c0881c4
	v_cmp_gt_f32_e64 s4, 0xf800000, v2
	v_fmaak_f32 v24, s5, v13, 0xbab64f3b
	v_fmaak_f32 v26, v16, v26, 0xbf000004
	v_mul_f32_e32 v15, v11, v11
	v_fmaak_f32 v23, v13, v23, 0xbe2aaa9d
	v_cndmask_b32_e64 v2, v2, v22, s4
	v_fmaak_f32 v24, v13, v24, 0x3d2aabf7
	v_mul_f32_e32 v25, v16, v25
	v_fmaak_f32 v18, 0, v15, 0x3d513fd3
	v_fmaak_f32 v19, 0, v15, 0x3a15c4d9
	v_fmaak_f32 v20, 0, v15, 0x3a47c962
	v_fmaak_f32 v21, 0, v15, 0x42947983
	v_mul_f32_e32 v23, v13, v23
	v_fmaak_f32 v18, v15, v18, 0x409f6dae
	v_fmaak_f32 v19, v15, v19, 0x3d8cfeeb
	;; [unrolled: 1-line block ×9, first 2 shown]
	v_fmac_f32_e32 v8, v8, v23
	v_fmaak_f32 v18, v15, v18, 0x43b763ca
	v_fmaak_f32 v19, v15, v19, 0x40a25d18
	;; [unrolled: 1-line block ×4, first 2 shown]
	v_sqrt_f32_e32 v29, v2
	v_fmaak_f32 v18, v15, v18, 0x4431b6ce
	v_fmaak_f32 v19, v15, v19, 0x410665cf
	;; [unrolled: 1-line block ×4, first 2 shown]
	v_fma_f32 v13, v13, v24, 1.0
	v_fmaak_f32 v18, v15, v18, 0x44155f56
	v_fmaak_f32 v19, v15, v19, 0x40a6b6ea
	;; [unrolled: 1-line block ×4, first 2 shown]
	v_fma_f32 v16, v16, v26, 1.0
	v_fmaak_f32 v18, v15, v18, 0x4353b052
	v_fma_f32 v19, v15, v19, 1.0
	v_fma_f32 v20, v15, v20, 1.0
	v_fmaak_f32 v21, v15, v21, 0x43a80bfb
	v_cmp_eq_u32_e64 s7, 0, v14
	v_fmaak_f32 v15, v15, v18, 0x41c9a7fa
	v_lshlrev_b32_e32 v9, 30, v9
	v_div_scale_f32 v18, null, v19, v19, v20
	v_div_scale_f32 v32, vcc_lo, v20, v19, v20
	v_div_scale_f32 v27, null, v21, v21, v15
	v_rcp_f32_e32 v22, v18
	v_fmac_f32_e32 v10, v10, v25
	v_cndmask_b32_e64 v8, v13, v8, s7
	v_rcp_f32_e32 v28, v27
	v_cmp_eq_u32_e64 s7, 0, v17
	v_and_b32_e32 v9, 0x80000000, v9
	v_add_nc_u32_e32 v25, -1, v29
	v_cndmask_b32_e64 v10, -v10, v16, s7
	v_fma_f32 v30, -v18, v22, 1.0
	v_fma_f32 v13, -v25, v29, v2
	v_xor3_b32 v6, v6, v9, v8
	v_fma_f32 v31, -v27, v28, 1.0
	v_xor_b32_e32 v10, v12, v10
	v_fmac_f32_e32 v22, v30, v22
	v_div_scale_f32 v30, s5, v15, v21, v15
	v_fmac_f32_e32 v28, v31, v28
	v_add_nc_u32_e32 v31, 1, v29
	v_mul_f32_e32 v23, v32, v22
	v_mul_f32_e32 v24, v30, v28
	v_fma_f32 v14, -v31, v29, v2
	v_fma_f32 v26, -v18, v23, v32
	;; [unrolled: 1-line block ×3, first 2 shown]
	v_fmac_f32_e32 v23, v26, v22
	v_fmac_f32_e32 v24, v33, v28
	v_fma_f32 v16, -v18, v23, v32
	v_fma_f32 v8, -v27, v24, v30
	v_div_fmas_f32 v9, v16, v22, v23
	s_mov_b32 vcc_lo, s5
	v_cmp_ge_f32_e64 s5, 0, v13
	v_div_fmas_f32 v8, v8, v28, v24
	v_cmp_class_f32_e64 vcc_lo, v1, 0x1f8
	v_div_fixup_f32 v9, v9, v19, v20
	v_cndmask_b32_e64 v1, v29, v25, s5
	v_div_fixup_f32 v8, v8, v21, v15
	v_cmp_lt_f32_e64 s5, 0, v14
	v_cndmask_b32_e32 v10, 0x7fc00000, v10, vcc_lo
	v_cndmask_b32_e32 v6, 0x7fc00000, v6, vcc_lo
	v_cmp_class_f32_e64 vcc_lo, v2, 0x260
	v_mul_f32_e32 v8, v11, v8
	v_cndmask_b32_e64 v1, v1, v31, s5
	v_mul_f32_e32 v8, v8, v10
	v_mul_f32_e32 v11, 0x37800000, v1
	v_fmac_f32_e32 v8, v9, v6
	v_cndmask_b32_e64 v1, v1, v11, s4
	v_cndmask_b32_e32 v1, v1, v2, vcc_lo
	v_mul_f32_e32 v2, 0x3f4c422a, v8
	v_div_scale_f32 v6, null, v1, v1, v2
	v_rcp_f32_e32 v8, v6
	v_fma_f32 v9, -v6, v8, 1.0
	v_fmac_f32_e32 v8, v9, v8
	v_div_scale_f32 v9, vcc_lo, v2, v1, v2
	v_mul_f32_e32 v10, v9, v8
	v_fma_f32 v11, -v6, v10, v9
	v_fmac_f32_e32 v10, v11, v8
	v_fma_f32 v6, -v6, v10, v9
	v_div_fmas_f32 v6, v6, v8, v10
	v_div_fixup_f32 v6, v6, v1, v2
.LBB17_67:
	s_or_b32 exec_lo, exec_lo, s15
	s_add_u32 s4, s8, s12
	s_addc_u32 s5, s9, s13
	v_add_co_u32 v1, s7, s4, v7
	v_add_co_ci_u32_e64 v2, null, s5, 0, s7
	global_store_dwordx2 v7, v[3:4], s[4:5]
	v_add_co_u32 v1, vcc_lo, 0x800, v1
	v_add_co_ci_u32_e64 v2, null, 0, v2, vcc_lo
	global_store_dwordx2 v[1:2], v[5:6], off
.LBB17_68:
	s_endpgm
	.section	.rodata,"a",@progbits
	.p2align	6, 0x0
	.amdhsa_kernel _ZN2at6native29vectorized_elementwise_kernelILi2EZZZNS0_12_GLOBAL__N_121bessel_y1_kernel_cudaERNS_18TensorIteratorBaseEENKUlvE_clEvENKUlvE0_clEvEUlfE_St5arrayIPcLm2EEEEviT0_T1_
		.amdhsa_group_segment_fixed_size 0
		.amdhsa_private_segment_fixed_size 0
		.amdhsa_kernarg_size 24
		.amdhsa_user_sgpr_count 6
		.amdhsa_user_sgpr_private_segment_buffer 1
		.amdhsa_user_sgpr_dispatch_ptr 0
		.amdhsa_user_sgpr_queue_ptr 0
		.amdhsa_user_sgpr_kernarg_segment_ptr 1
		.amdhsa_user_sgpr_dispatch_id 0
		.amdhsa_user_sgpr_flat_scratch_init 0
		.amdhsa_user_sgpr_private_segment_size 0
		.amdhsa_wavefront_size32 1
		.amdhsa_uses_dynamic_stack 0
		.amdhsa_system_sgpr_private_segment_wavefront_offset 0
		.amdhsa_system_sgpr_workgroup_id_x 1
		.amdhsa_system_sgpr_workgroup_id_y 0
		.amdhsa_system_sgpr_workgroup_id_z 0
		.amdhsa_system_sgpr_workgroup_info 0
		.amdhsa_system_vgpr_workitem_id 0
		.amdhsa_next_free_vgpr 40
		.amdhsa_next_free_sgpr 33
		.amdhsa_reserve_vcc 1
		.amdhsa_reserve_flat_scratch 0
		.amdhsa_float_round_mode_32 0
		.amdhsa_float_round_mode_16_64 0
		.amdhsa_float_denorm_mode_32 3
		.amdhsa_float_denorm_mode_16_64 3
		.amdhsa_dx10_clamp 1
		.amdhsa_ieee_mode 1
		.amdhsa_fp16_overflow 0
		.amdhsa_workgroup_processor_mode 1
		.amdhsa_memory_ordered 1
		.amdhsa_forward_progress 1
		.amdhsa_shared_vgpr_count 0
		.amdhsa_exception_fp_ieee_invalid_op 0
		.amdhsa_exception_fp_denorm_src 0
		.amdhsa_exception_fp_ieee_div_zero 0
		.amdhsa_exception_fp_ieee_overflow 0
		.amdhsa_exception_fp_ieee_underflow 0
		.amdhsa_exception_fp_ieee_inexact 0
		.amdhsa_exception_int_div_zero 0
	.end_amdhsa_kernel
	.section	.text._ZN2at6native29vectorized_elementwise_kernelILi2EZZZNS0_12_GLOBAL__N_121bessel_y1_kernel_cudaERNS_18TensorIteratorBaseEENKUlvE_clEvENKUlvE0_clEvEUlfE_St5arrayIPcLm2EEEEviT0_T1_,"axG",@progbits,_ZN2at6native29vectorized_elementwise_kernelILi2EZZZNS0_12_GLOBAL__N_121bessel_y1_kernel_cudaERNS_18TensorIteratorBaseEENKUlvE_clEvENKUlvE0_clEvEUlfE_St5arrayIPcLm2EEEEviT0_T1_,comdat
.Lfunc_end17:
	.size	_ZN2at6native29vectorized_elementwise_kernelILi2EZZZNS0_12_GLOBAL__N_121bessel_y1_kernel_cudaERNS_18TensorIteratorBaseEENKUlvE_clEvENKUlvE0_clEvEUlfE_St5arrayIPcLm2EEEEviT0_T1_, .Lfunc_end17-_ZN2at6native29vectorized_elementwise_kernelILi2EZZZNS0_12_GLOBAL__N_121bessel_y1_kernel_cudaERNS_18TensorIteratorBaseEENKUlvE_clEvENKUlvE0_clEvEUlfE_St5arrayIPcLm2EEEEviT0_T1_
                                        ; -- End function
	.set _ZN2at6native29vectorized_elementwise_kernelILi2EZZZNS0_12_GLOBAL__N_121bessel_y1_kernel_cudaERNS_18TensorIteratorBaseEENKUlvE_clEvENKUlvE0_clEvEUlfE_St5arrayIPcLm2EEEEviT0_T1_.num_vgpr, max(34, .L_ZN2at6native25elementwise_kernel_helperILb0EZZZNS0_12_GLOBAL__N_121bessel_y1_kernel_cudaERNS_18TensorIteratorBaseEENKUlvE_clEvENKUlvE0_clEvEUlfE_NS0_6memory8policies11unroll_baseILi256ESt5arrayIPcLm2EE23TrivialOffsetCalculatorILi1EjESF_NS8_15LoadWithoutCastENS8_16StoreWithoutCastELi4ELi1EEEEEvT0_T1_.num_vgpr)
	.set _ZN2at6native29vectorized_elementwise_kernelILi2EZZZNS0_12_GLOBAL__N_121bessel_y1_kernel_cudaERNS_18TensorIteratorBaseEENKUlvE_clEvENKUlvE0_clEvEUlfE_St5arrayIPcLm2EEEEviT0_T1_.num_agpr, max(0, .L_ZN2at6native25elementwise_kernel_helperILb0EZZZNS0_12_GLOBAL__N_121bessel_y1_kernel_cudaERNS_18TensorIteratorBaseEENKUlvE_clEvENKUlvE0_clEvEUlfE_NS0_6memory8policies11unroll_baseILi256ESt5arrayIPcLm2EE23TrivialOffsetCalculatorILi1EjESF_NS8_15LoadWithoutCastENS8_16StoreWithoutCastELi4ELi1EEEEEvT0_T1_.num_agpr)
	.set _ZN2at6native29vectorized_elementwise_kernelILi2EZZZNS0_12_GLOBAL__N_121bessel_y1_kernel_cudaERNS_18TensorIteratorBaseEENKUlvE_clEvENKUlvE0_clEvEUlfE_St5arrayIPcLm2EEEEviT0_T1_.numbered_sgpr, max(33, .L_ZN2at6native25elementwise_kernel_helperILb0EZZZNS0_12_GLOBAL__N_121bessel_y1_kernel_cudaERNS_18TensorIteratorBaseEENKUlvE_clEvENKUlvE0_clEvEUlfE_NS0_6memory8policies11unroll_baseILi256ESt5arrayIPcLm2EE23TrivialOffsetCalculatorILi1EjESF_NS8_15LoadWithoutCastENS8_16StoreWithoutCastELi4ELi1EEEEEvT0_T1_.numbered_sgpr)
	.set _ZN2at6native29vectorized_elementwise_kernelILi2EZZZNS0_12_GLOBAL__N_121bessel_y1_kernel_cudaERNS_18TensorIteratorBaseEENKUlvE_clEvENKUlvE0_clEvEUlfE_St5arrayIPcLm2EEEEviT0_T1_.num_named_barrier, max(0, .L_ZN2at6native25elementwise_kernel_helperILb0EZZZNS0_12_GLOBAL__N_121bessel_y1_kernel_cudaERNS_18TensorIteratorBaseEENKUlvE_clEvENKUlvE0_clEvEUlfE_NS0_6memory8policies11unroll_baseILi256ESt5arrayIPcLm2EE23TrivialOffsetCalculatorILi1EjESF_NS8_15LoadWithoutCastENS8_16StoreWithoutCastELi4ELi1EEEEEvT0_T1_.num_named_barrier)
	.set _ZN2at6native29vectorized_elementwise_kernelILi2EZZZNS0_12_GLOBAL__N_121bessel_y1_kernel_cudaERNS_18TensorIteratorBaseEENKUlvE_clEvENKUlvE0_clEvEUlfE_St5arrayIPcLm2EEEEviT0_T1_.private_seg_size, 0+max(.L_ZN2at6native25elementwise_kernel_helperILb0EZZZNS0_12_GLOBAL__N_121bessel_y1_kernel_cudaERNS_18TensorIteratorBaseEENKUlvE_clEvENKUlvE0_clEvEUlfE_NS0_6memory8policies11unroll_baseILi256ESt5arrayIPcLm2EE23TrivialOffsetCalculatorILi1EjESF_NS8_15LoadWithoutCastENS8_16StoreWithoutCastELi4ELi1EEEEEvT0_T1_.private_seg_size)
	.set _ZN2at6native29vectorized_elementwise_kernelILi2EZZZNS0_12_GLOBAL__N_121bessel_y1_kernel_cudaERNS_18TensorIteratorBaseEENKUlvE_clEvENKUlvE0_clEvEUlfE_St5arrayIPcLm2EEEEviT0_T1_.uses_vcc, or(1, .L_ZN2at6native25elementwise_kernel_helperILb0EZZZNS0_12_GLOBAL__N_121bessel_y1_kernel_cudaERNS_18TensorIteratorBaseEENKUlvE_clEvENKUlvE0_clEvEUlfE_NS0_6memory8policies11unroll_baseILi256ESt5arrayIPcLm2EE23TrivialOffsetCalculatorILi1EjESF_NS8_15LoadWithoutCastENS8_16StoreWithoutCastELi4ELi1EEEEEvT0_T1_.uses_vcc)
	.set _ZN2at6native29vectorized_elementwise_kernelILi2EZZZNS0_12_GLOBAL__N_121bessel_y1_kernel_cudaERNS_18TensorIteratorBaseEENKUlvE_clEvENKUlvE0_clEvEUlfE_St5arrayIPcLm2EEEEviT0_T1_.uses_flat_scratch, or(0, .L_ZN2at6native25elementwise_kernel_helperILb0EZZZNS0_12_GLOBAL__N_121bessel_y1_kernel_cudaERNS_18TensorIteratorBaseEENKUlvE_clEvENKUlvE0_clEvEUlfE_NS0_6memory8policies11unroll_baseILi256ESt5arrayIPcLm2EE23TrivialOffsetCalculatorILi1EjESF_NS8_15LoadWithoutCastENS8_16StoreWithoutCastELi4ELi1EEEEEvT0_T1_.uses_flat_scratch)
	.set _ZN2at6native29vectorized_elementwise_kernelILi2EZZZNS0_12_GLOBAL__N_121bessel_y1_kernel_cudaERNS_18TensorIteratorBaseEENKUlvE_clEvENKUlvE0_clEvEUlfE_St5arrayIPcLm2EEEEviT0_T1_.has_dyn_sized_stack, or(0, .L_ZN2at6native25elementwise_kernel_helperILb0EZZZNS0_12_GLOBAL__N_121bessel_y1_kernel_cudaERNS_18TensorIteratorBaseEENKUlvE_clEvENKUlvE0_clEvEUlfE_NS0_6memory8policies11unroll_baseILi256ESt5arrayIPcLm2EE23TrivialOffsetCalculatorILi1EjESF_NS8_15LoadWithoutCastENS8_16StoreWithoutCastELi4ELi1EEEEEvT0_T1_.has_dyn_sized_stack)
	.set _ZN2at6native29vectorized_elementwise_kernelILi2EZZZNS0_12_GLOBAL__N_121bessel_y1_kernel_cudaERNS_18TensorIteratorBaseEENKUlvE_clEvENKUlvE0_clEvEUlfE_St5arrayIPcLm2EEEEviT0_T1_.has_recursion, or(0, .L_ZN2at6native25elementwise_kernel_helperILb0EZZZNS0_12_GLOBAL__N_121bessel_y1_kernel_cudaERNS_18TensorIteratorBaseEENKUlvE_clEvENKUlvE0_clEvEUlfE_NS0_6memory8policies11unroll_baseILi256ESt5arrayIPcLm2EE23TrivialOffsetCalculatorILi1EjESF_NS8_15LoadWithoutCastENS8_16StoreWithoutCastELi4ELi1EEEEEvT0_T1_.has_recursion)
	.set _ZN2at6native29vectorized_elementwise_kernelILi2EZZZNS0_12_GLOBAL__N_121bessel_y1_kernel_cudaERNS_18TensorIteratorBaseEENKUlvE_clEvENKUlvE0_clEvEUlfE_St5arrayIPcLm2EEEEviT0_T1_.has_indirect_call, or(0, .L_ZN2at6native25elementwise_kernel_helperILb0EZZZNS0_12_GLOBAL__N_121bessel_y1_kernel_cudaERNS_18TensorIteratorBaseEENKUlvE_clEvENKUlvE0_clEvEUlfE_NS0_6memory8policies11unroll_baseILi256ESt5arrayIPcLm2EE23TrivialOffsetCalculatorILi1EjESF_NS8_15LoadWithoutCastENS8_16StoreWithoutCastELi4ELi1EEEEEvT0_T1_.has_indirect_call)
	.section	.AMDGPU.csdata,"",@progbits
; Kernel info:
; codeLenInByte = 11804
; TotalNumSgprs: 35
; NumVgprs: 40
; ScratchSize: 0
; MemoryBound: 0
; FloatMode: 240
; IeeeMode: 1
; LDSByteSize: 0 bytes/workgroup (compile time only)
; SGPRBlocks: 0
; VGPRBlocks: 4
; NumSGPRsForWavesPerEU: 35
; NumVGPRsForWavesPerEU: 40
; Occupancy: 16
; WaveLimiterHint : 1
; COMPUTE_PGM_RSRC2:SCRATCH_EN: 0
; COMPUTE_PGM_RSRC2:USER_SGPR: 6
; COMPUTE_PGM_RSRC2:TRAP_HANDLER: 0
; COMPUTE_PGM_RSRC2:TGID_X_EN: 1
; COMPUTE_PGM_RSRC2:TGID_Y_EN: 0
; COMPUTE_PGM_RSRC2:TGID_Z_EN: 0
; COMPUTE_PGM_RSRC2:TIDIG_COMP_CNT: 0
	.section	.text._ZN2at6native27unrolled_elementwise_kernelIZZZNS0_12_GLOBAL__N_121bessel_y1_kernel_cudaERNS_18TensorIteratorBaseEENKUlvE_clEvENKUlvE0_clEvEUlfE_St5arrayIPcLm2EELi4E23TrivialOffsetCalculatorILi1EjESC_NS0_6memory15LoadWithoutCastENSD_16StoreWithoutCastEEEviT_T0_T2_T3_T4_T5_,"axG",@progbits,_ZN2at6native27unrolled_elementwise_kernelIZZZNS0_12_GLOBAL__N_121bessel_y1_kernel_cudaERNS_18TensorIteratorBaseEENKUlvE_clEvENKUlvE0_clEvEUlfE_St5arrayIPcLm2EELi4E23TrivialOffsetCalculatorILi1EjESC_NS0_6memory15LoadWithoutCastENSD_16StoreWithoutCastEEEviT_T0_T2_T3_T4_T5_,comdat
	.globl	_ZN2at6native27unrolled_elementwise_kernelIZZZNS0_12_GLOBAL__N_121bessel_y1_kernel_cudaERNS_18TensorIteratorBaseEENKUlvE_clEvENKUlvE0_clEvEUlfE_St5arrayIPcLm2EELi4E23TrivialOffsetCalculatorILi1EjESC_NS0_6memory15LoadWithoutCastENSD_16StoreWithoutCastEEEviT_T0_T2_T3_T4_T5_ ; -- Begin function _ZN2at6native27unrolled_elementwise_kernelIZZZNS0_12_GLOBAL__N_121bessel_y1_kernel_cudaERNS_18TensorIteratorBaseEENKUlvE_clEvENKUlvE0_clEvEUlfE_St5arrayIPcLm2EELi4E23TrivialOffsetCalculatorILi1EjESC_NS0_6memory15LoadWithoutCastENSD_16StoreWithoutCastEEEviT_T0_T2_T3_T4_T5_
	.p2align	8
	.type	_ZN2at6native27unrolled_elementwise_kernelIZZZNS0_12_GLOBAL__N_121bessel_y1_kernel_cudaERNS_18TensorIteratorBaseEENKUlvE_clEvENKUlvE0_clEvEUlfE_St5arrayIPcLm2EELi4E23TrivialOffsetCalculatorILi1EjESC_NS0_6memory15LoadWithoutCastENSD_16StoreWithoutCastEEEviT_T0_T2_T3_T4_T5_,@function
_ZN2at6native27unrolled_elementwise_kernelIZZZNS0_12_GLOBAL__N_121bessel_y1_kernel_cudaERNS_18TensorIteratorBaseEENKUlvE_clEvENKUlvE0_clEvEUlfE_St5arrayIPcLm2EELi4E23TrivialOffsetCalculatorILi1EjESC_NS0_6memory15LoadWithoutCastENSD_16StoreWithoutCastEEEviT_T0_T2_T3_T4_T5_: ; @_ZN2at6native27unrolled_elementwise_kernelIZZZNS0_12_GLOBAL__N_121bessel_y1_kernel_cudaERNS_18TensorIteratorBaseEENKUlvE_clEvENKUlvE0_clEvEUlfE_St5arrayIPcLm2EELi4E23TrivialOffsetCalculatorILi1EjESC_NS0_6memory15LoadWithoutCastENSD_16StoreWithoutCastEEEviT_T0_T2_T3_T4_T5_
; %bb.0:
	s_add_u32 s0, s0, s7
	s_clause 0x1
	s_load_dword s7, s[4:5], 0x0
	s_load_dwordx4 s[8:11], s[4:5], 0x8
	s_addc_u32 s1, s1, 0
	s_lshl_b32 s12, s6, 10
	s_getpc_b64 s[4:5]
	s_add_u32 s4, s4, _ZN2at6native25elementwise_kernel_helperILb0EZZZNS0_12_GLOBAL__N_121bessel_y1_kernel_cudaERNS_18TensorIteratorBaseEENKUlvE_clEvENKUlvE0_clEvEUlfE_NS0_6memory8policies11unroll_baseILi256ESt5arrayIPcLm2EE23TrivialOffsetCalculatorILi1EjESF_NS8_15LoadWithoutCastENS8_16StoreWithoutCastELi4ELi1EEEEEvT0_T1_@rel32@lo+4
	s_addc_u32 s5, s5, _ZN2at6native25elementwise_kernel_helperILb0EZZZNS0_12_GLOBAL__N_121bessel_y1_kernel_cudaERNS_18TensorIteratorBaseEENKUlvE_clEvENKUlvE0_clEvEUlfE_NS0_6memory8policies11unroll_baseILi256ESt5arrayIPcLm2EE23TrivialOffsetCalculatorILi1EjESF_NS8_15LoadWithoutCastENS8_16StoreWithoutCastELi4ELi1EEEEEvT0_T1_@rel32@hi+12
	v_mov_b32_e32 v31, v0
	s_mov_b32 s32, 0
	s_waitcnt lgkmcnt(0)
	s_sub_i32 s7, s7, s12
	v_mov_b32_e32 v0, s8
	v_mov_b32_e32 v1, s9
	;; [unrolled: 1-line block ×5, first 2 shown]
	s_mov_b32 s12, s6
	s_swappc_b64 s[30:31], s[4:5]
	s_endpgm
	.section	.rodata,"a",@progbits
	.p2align	6, 0x0
	.amdhsa_kernel _ZN2at6native27unrolled_elementwise_kernelIZZZNS0_12_GLOBAL__N_121bessel_y1_kernel_cudaERNS_18TensorIteratorBaseEENKUlvE_clEvENKUlvE0_clEvEUlfE_St5arrayIPcLm2EELi4E23TrivialOffsetCalculatorILi1EjESC_NS0_6memory15LoadWithoutCastENSD_16StoreWithoutCastEEEviT_T0_T2_T3_T4_T5_
		.amdhsa_group_segment_fixed_size 0
		.amdhsa_private_segment_fixed_size 0
		.amdhsa_kernarg_size 28
		.amdhsa_user_sgpr_count 6
		.amdhsa_user_sgpr_private_segment_buffer 1
		.amdhsa_user_sgpr_dispatch_ptr 0
		.amdhsa_user_sgpr_queue_ptr 0
		.amdhsa_user_sgpr_kernarg_segment_ptr 1
		.amdhsa_user_sgpr_dispatch_id 0
		.amdhsa_user_sgpr_flat_scratch_init 0
		.amdhsa_user_sgpr_private_segment_size 0
		.amdhsa_wavefront_size32 1
		.amdhsa_uses_dynamic_stack 0
		.amdhsa_system_sgpr_private_segment_wavefront_offset 0
		.amdhsa_system_sgpr_workgroup_id_x 1
		.amdhsa_system_sgpr_workgroup_id_y 0
		.amdhsa_system_sgpr_workgroup_id_z 0
		.amdhsa_system_sgpr_workgroup_info 0
		.amdhsa_system_vgpr_workitem_id 0
		.amdhsa_next_free_vgpr 40
		.amdhsa_next_free_sgpr 33
		.amdhsa_reserve_vcc 1
		.amdhsa_reserve_flat_scratch 0
		.amdhsa_float_round_mode_32 0
		.amdhsa_float_round_mode_16_64 0
		.amdhsa_float_denorm_mode_32 3
		.amdhsa_float_denorm_mode_16_64 3
		.amdhsa_dx10_clamp 1
		.amdhsa_ieee_mode 1
		.amdhsa_fp16_overflow 0
		.amdhsa_workgroup_processor_mode 1
		.amdhsa_memory_ordered 1
		.amdhsa_forward_progress 1
		.amdhsa_shared_vgpr_count 0
		.amdhsa_exception_fp_ieee_invalid_op 0
		.amdhsa_exception_fp_denorm_src 0
		.amdhsa_exception_fp_ieee_div_zero 0
		.amdhsa_exception_fp_ieee_overflow 0
		.amdhsa_exception_fp_ieee_underflow 0
		.amdhsa_exception_fp_ieee_inexact 0
		.amdhsa_exception_int_div_zero 0
	.end_amdhsa_kernel
	.section	.text._ZN2at6native27unrolled_elementwise_kernelIZZZNS0_12_GLOBAL__N_121bessel_y1_kernel_cudaERNS_18TensorIteratorBaseEENKUlvE_clEvENKUlvE0_clEvEUlfE_St5arrayIPcLm2EELi4E23TrivialOffsetCalculatorILi1EjESC_NS0_6memory15LoadWithoutCastENSD_16StoreWithoutCastEEEviT_T0_T2_T3_T4_T5_,"axG",@progbits,_ZN2at6native27unrolled_elementwise_kernelIZZZNS0_12_GLOBAL__N_121bessel_y1_kernel_cudaERNS_18TensorIteratorBaseEENKUlvE_clEvENKUlvE0_clEvEUlfE_St5arrayIPcLm2EELi4E23TrivialOffsetCalculatorILi1EjESC_NS0_6memory15LoadWithoutCastENSD_16StoreWithoutCastEEEviT_T0_T2_T3_T4_T5_,comdat
.Lfunc_end18:
	.size	_ZN2at6native27unrolled_elementwise_kernelIZZZNS0_12_GLOBAL__N_121bessel_y1_kernel_cudaERNS_18TensorIteratorBaseEENKUlvE_clEvENKUlvE0_clEvEUlfE_St5arrayIPcLm2EELi4E23TrivialOffsetCalculatorILi1EjESC_NS0_6memory15LoadWithoutCastENSD_16StoreWithoutCastEEEviT_T0_T2_T3_T4_T5_, .Lfunc_end18-_ZN2at6native27unrolled_elementwise_kernelIZZZNS0_12_GLOBAL__N_121bessel_y1_kernel_cudaERNS_18TensorIteratorBaseEENKUlvE_clEvENKUlvE0_clEvEUlfE_St5arrayIPcLm2EELi4E23TrivialOffsetCalculatorILi1EjESC_NS0_6memory15LoadWithoutCastENSD_16StoreWithoutCastEEEviT_T0_T2_T3_T4_T5_
                                        ; -- End function
	.set _ZN2at6native27unrolled_elementwise_kernelIZZZNS0_12_GLOBAL__N_121bessel_y1_kernel_cudaERNS_18TensorIteratorBaseEENKUlvE_clEvENKUlvE0_clEvEUlfE_St5arrayIPcLm2EELi4E23TrivialOffsetCalculatorILi1EjESC_NS0_6memory15LoadWithoutCastENSD_16StoreWithoutCastEEEviT_T0_T2_T3_T4_T5_.num_vgpr, max(32, .L_ZN2at6native25elementwise_kernel_helperILb0EZZZNS0_12_GLOBAL__N_121bessel_y1_kernel_cudaERNS_18TensorIteratorBaseEENKUlvE_clEvENKUlvE0_clEvEUlfE_NS0_6memory8policies11unroll_baseILi256ESt5arrayIPcLm2EE23TrivialOffsetCalculatorILi1EjESF_NS8_15LoadWithoutCastENS8_16StoreWithoutCastELi4ELi1EEEEEvT0_T1_.num_vgpr)
	.set _ZN2at6native27unrolled_elementwise_kernelIZZZNS0_12_GLOBAL__N_121bessel_y1_kernel_cudaERNS_18TensorIteratorBaseEENKUlvE_clEvENKUlvE0_clEvEUlfE_St5arrayIPcLm2EELi4E23TrivialOffsetCalculatorILi1EjESC_NS0_6memory15LoadWithoutCastENSD_16StoreWithoutCastEEEviT_T0_T2_T3_T4_T5_.num_agpr, max(0, .L_ZN2at6native25elementwise_kernel_helperILb0EZZZNS0_12_GLOBAL__N_121bessel_y1_kernel_cudaERNS_18TensorIteratorBaseEENKUlvE_clEvENKUlvE0_clEvEUlfE_NS0_6memory8policies11unroll_baseILi256ESt5arrayIPcLm2EE23TrivialOffsetCalculatorILi1EjESF_NS8_15LoadWithoutCastENS8_16StoreWithoutCastELi4ELi1EEEEEvT0_T1_.num_agpr)
	.set _ZN2at6native27unrolled_elementwise_kernelIZZZNS0_12_GLOBAL__N_121bessel_y1_kernel_cudaERNS_18TensorIteratorBaseEENKUlvE_clEvENKUlvE0_clEvEUlfE_St5arrayIPcLm2EELi4E23TrivialOffsetCalculatorILi1EjESC_NS0_6memory15LoadWithoutCastENSD_16StoreWithoutCastEEEviT_T0_T2_T3_T4_T5_.numbered_sgpr, max(33, .L_ZN2at6native25elementwise_kernel_helperILb0EZZZNS0_12_GLOBAL__N_121bessel_y1_kernel_cudaERNS_18TensorIteratorBaseEENKUlvE_clEvENKUlvE0_clEvEUlfE_NS0_6memory8policies11unroll_baseILi256ESt5arrayIPcLm2EE23TrivialOffsetCalculatorILi1EjESF_NS8_15LoadWithoutCastENS8_16StoreWithoutCastELi4ELi1EEEEEvT0_T1_.numbered_sgpr)
	.set _ZN2at6native27unrolled_elementwise_kernelIZZZNS0_12_GLOBAL__N_121bessel_y1_kernel_cudaERNS_18TensorIteratorBaseEENKUlvE_clEvENKUlvE0_clEvEUlfE_St5arrayIPcLm2EELi4E23TrivialOffsetCalculatorILi1EjESC_NS0_6memory15LoadWithoutCastENSD_16StoreWithoutCastEEEviT_T0_T2_T3_T4_T5_.num_named_barrier, max(0, .L_ZN2at6native25elementwise_kernel_helperILb0EZZZNS0_12_GLOBAL__N_121bessel_y1_kernel_cudaERNS_18TensorIteratorBaseEENKUlvE_clEvENKUlvE0_clEvEUlfE_NS0_6memory8policies11unroll_baseILi256ESt5arrayIPcLm2EE23TrivialOffsetCalculatorILi1EjESF_NS8_15LoadWithoutCastENS8_16StoreWithoutCastELi4ELi1EEEEEvT0_T1_.num_named_barrier)
	.set _ZN2at6native27unrolled_elementwise_kernelIZZZNS0_12_GLOBAL__N_121bessel_y1_kernel_cudaERNS_18TensorIteratorBaseEENKUlvE_clEvENKUlvE0_clEvEUlfE_St5arrayIPcLm2EELi4E23TrivialOffsetCalculatorILi1EjESC_NS0_6memory15LoadWithoutCastENSD_16StoreWithoutCastEEEviT_T0_T2_T3_T4_T5_.private_seg_size, 0+max(.L_ZN2at6native25elementwise_kernel_helperILb0EZZZNS0_12_GLOBAL__N_121bessel_y1_kernel_cudaERNS_18TensorIteratorBaseEENKUlvE_clEvENKUlvE0_clEvEUlfE_NS0_6memory8policies11unroll_baseILi256ESt5arrayIPcLm2EE23TrivialOffsetCalculatorILi1EjESF_NS8_15LoadWithoutCastENS8_16StoreWithoutCastELi4ELi1EEEEEvT0_T1_.private_seg_size)
	.set _ZN2at6native27unrolled_elementwise_kernelIZZZNS0_12_GLOBAL__N_121bessel_y1_kernel_cudaERNS_18TensorIteratorBaseEENKUlvE_clEvENKUlvE0_clEvEUlfE_St5arrayIPcLm2EELi4E23TrivialOffsetCalculatorILi1EjESC_NS0_6memory15LoadWithoutCastENSD_16StoreWithoutCastEEEviT_T0_T2_T3_T4_T5_.uses_vcc, or(1, .L_ZN2at6native25elementwise_kernel_helperILb0EZZZNS0_12_GLOBAL__N_121bessel_y1_kernel_cudaERNS_18TensorIteratorBaseEENKUlvE_clEvENKUlvE0_clEvEUlfE_NS0_6memory8policies11unroll_baseILi256ESt5arrayIPcLm2EE23TrivialOffsetCalculatorILi1EjESF_NS8_15LoadWithoutCastENS8_16StoreWithoutCastELi4ELi1EEEEEvT0_T1_.uses_vcc)
	.set _ZN2at6native27unrolled_elementwise_kernelIZZZNS0_12_GLOBAL__N_121bessel_y1_kernel_cudaERNS_18TensorIteratorBaseEENKUlvE_clEvENKUlvE0_clEvEUlfE_St5arrayIPcLm2EELi4E23TrivialOffsetCalculatorILi1EjESC_NS0_6memory15LoadWithoutCastENSD_16StoreWithoutCastEEEviT_T0_T2_T3_T4_T5_.uses_flat_scratch, or(0, .L_ZN2at6native25elementwise_kernel_helperILb0EZZZNS0_12_GLOBAL__N_121bessel_y1_kernel_cudaERNS_18TensorIteratorBaseEENKUlvE_clEvENKUlvE0_clEvEUlfE_NS0_6memory8policies11unroll_baseILi256ESt5arrayIPcLm2EE23TrivialOffsetCalculatorILi1EjESF_NS8_15LoadWithoutCastENS8_16StoreWithoutCastELi4ELi1EEEEEvT0_T1_.uses_flat_scratch)
	.set _ZN2at6native27unrolled_elementwise_kernelIZZZNS0_12_GLOBAL__N_121bessel_y1_kernel_cudaERNS_18TensorIteratorBaseEENKUlvE_clEvENKUlvE0_clEvEUlfE_St5arrayIPcLm2EELi4E23TrivialOffsetCalculatorILi1EjESC_NS0_6memory15LoadWithoutCastENSD_16StoreWithoutCastEEEviT_T0_T2_T3_T4_T5_.has_dyn_sized_stack, or(0, .L_ZN2at6native25elementwise_kernel_helperILb0EZZZNS0_12_GLOBAL__N_121bessel_y1_kernel_cudaERNS_18TensorIteratorBaseEENKUlvE_clEvENKUlvE0_clEvEUlfE_NS0_6memory8policies11unroll_baseILi256ESt5arrayIPcLm2EE23TrivialOffsetCalculatorILi1EjESF_NS8_15LoadWithoutCastENS8_16StoreWithoutCastELi4ELi1EEEEEvT0_T1_.has_dyn_sized_stack)
	.set _ZN2at6native27unrolled_elementwise_kernelIZZZNS0_12_GLOBAL__N_121bessel_y1_kernel_cudaERNS_18TensorIteratorBaseEENKUlvE_clEvENKUlvE0_clEvEUlfE_St5arrayIPcLm2EELi4E23TrivialOffsetCalculatorILi1EjESC_NS0_6memory15LoadWithoutCastENSD_16StoreWithoutCastEEEviT_T0_T2_T3_T4_T5_.has_recursion, or(0, .L_ZN2at6native25elementwise_kernel_helperILb0EZZZNS0_12_GLOBAL__N_121bessel_y1_kernel_cudaERNS_18TensorIteratorBaseEENKUlvE_clEvENKUlvE0_clEvEUlfE_NS0_6memory8policies11unroll_baseILi256ESt5arrayIPcLm2EE23TrivialOffsetCalculatorILi1EjESF_NS8_15LoadWithoutCastENS8_16StoreWithoutCastELi4ELi1EEEEEvT0_T1_.has_recursion)
	.set _ZN2at6native27unrolled_elementwise_kernelIZZZNS0_12_GLOBAL__N_121bessel_y1_kernel_cudaERNS_18TensorIteratorBaseEENKUlvE_clEvENKUlvE0_clEvEUlfE_St5arrayIPcLm2EELi4E23TrivialOffsetCalculatorILi1EjESC_NS0_6memory15LoadWithoutCastENSD_16StoreWithoutCastEEEviT_T0_T2_T3_T4_T5_.has_indirect_call, or(0, .L_ZN2at6native25elementwise_kernel_helperILb0EZZZNS0_12_GLOBAL__N_121bessel_y1_kernel_cudaERNS_18TensorIteratorBaseEENKUlvE_clEvENKUlvE0_clEvEUlfE_NS0_6memory8policies11unroll_baseILi256ESt5arrayIPcLm2EE23TrivialOffsetCalculatorILi1EjESF_NS8_15LoadWithoutCastENS8_16StoreWithoutCastELi4ELi1EEEEEvT0_T1_.has_indirect_call)
	.section	.AMDGPU.csdata,"",@progbits
; Kernel info:
; codeLenInByte = 100
; TotalNumSgprs: 35
; NumVgprs: 40
; ScratchSize: 0
; MemoryBound: 0
; FloatMode: 240
; IeeeMode: 1
; LDSByteSize: 0 bytes/workgroup (compile time only)
; SGPRBlocks: 0
; VGPRBlocks: 4
; NumSGPRsForWavesPerEU: 35
; NumVGPRsForWavesPerEU: 40
; Occupancy: 16
; WaveLimiterHint : 0
; COMPUTE_PGM_RSRC2:SCRATCH_EN: 0
; COMPUTE_PGM_RSRC2:USER_SGPR: 6
; COMPUTE_PGM_RSRC2:TRAP_HANDLER: 0
; COMPUTE_PGM_RSRC2:TGID_X_EN: 1
; COMPUTE_PGM_RSRC2:TGID_Y_EN: 0
; COMPUTE_PGM_RSRC2:TGID_Z_EN: 0
; COMPUTE_PGM_RSRC2:TIDIG_COMP_CNT: 0
	.section	.text._ZN2at6native32elementwise_kernel_manual_unrollILi128ELi4EZNS0_22gpu_kernel_impl_nocastIZZZNS0_12_GLOBAL__N_121bessel_y1_kernel_cudaERNS_18TensorIteratorBaseEENKUlvE_clEvENKUlvE0_clEvEUlfE_EEvS5_RKT_EUlibE_EEviT1_,"axG",@progbits,_ZN2at6native32elementwise_kernel_manual_unrollILi128ELi4EZNS0_22gpu_kernel_impl_nocastIZZZNS0_12_GLOBAL__N_121bessel_y1_kernel_cudaERNS_18TensorIteratorBaseEENKUlvE_clEvENKUlvE0_clEvEUlfE_EEvS5_RKT_EUlibE_EEviT1_,comdat
	.globl	_ZN2at6native32elementwise_kernel_manual_unrollILi128ELi4EZNS0_22gpu_kernel_impl_nocastIZZZNS0_12_GLOBAL__N_121bessel_y1_kernel_cudaERNS_18TensorIteratorBaseEENKUlvE_clEvENKUlvE0_clEvEUlfE_EEvS5_RKT_EUlibE_EEviT1_ ; -- Begin function _ZN2at6native32elementwise_kernel_manual_unrollILi128ELi4EZNS0_22gpu_kernel_impl_nocastIZZZNS0_12_GLOBAL__N_121bessel_y1_kernel_cudaERNS_18TensorIteratorBaseEENKUlvE_clEvENKUlvE0_clEvEUlfE_EEvS5_RKT_EUlibE_EEviT1_
	.p2align	8
	.type	_ZN2at6native32elementwise_kernel_manual_unrollILi128ELi4EZNS0_22gpu_kernel_impl_nocastIZZZNS0_12_GLOBAL__N_121bessel_y1_kernel_cudaERNS_18TensorIteratorBaseEENKUlvE_clEvENKUlvE0_clEvEUlfE_EEvS5_RKT_EUlibE_EEviT1_,@function
_ZN2at6native32elementwise_kernel_manual_unrollILi128ELi4EZNS0_22gpu_kernel_impl_nocastIZZZNS0_12_GLOBAL__N_121bessel_y1_kernel_cudaERNS_18TensorIteratorBaseEENKUlvE_clEvENKUlvE0_clEvEUlfE_EEvS5_RKT_EUlibE_EEviT1_: ; @_ZN2at6native32elementwise_kernel_manual_unrollILi128ELi4EZNS0_22gpu_kernel_impl_nocastIZZZNS0_12_GLOBAL__N_121bessel_y1_kernel_cudaERNS_18TensorIteratorBaseEENKUlvE_clEvENKUlvE0_clEvEUlfE_EEvS5_RKT_EUlibE_EEviT1_
; %bb.0:
	s_clause 0x1
	s_load_dword s22, s[4:5], 0x8
	s_load_dword s27, s[4:5], 0x0
	v_lshl_or_b32 v4, s6, 9, v0
	s_add_u32 s16, s4, 8
	s_addc_u32 s17, s5, 0
	s_mov_b32 s0, exec_lo
	v_or_b32_e32 v13, 0x180, v4
	s_waitcnt lgkmcnt(0)
	s_add_i32 s23, s22, -1
	s_cmp_gt_u32 s23, 1
	s_cselect_b32 s24, -1, 0
	v_cmpx_le_i32_e64 s27, v13
	s_xor_b32 s25, exec_lo, s0
	s_cbranch_execz .LBB19_7
; %bb.1:
	s_clause 0x3
	s_load_dwordx4 s[12:15], s[16:17], 0x4
	s_load_dwordx2 s[18:19], s[16:17], 0x14
	s_load_dwordx4 s[8:11], s[16:17], 0xc4
	s_load_dwordx4 s[4:7], s[16:17], 0x148
	s_cmp_lg_u32 s22, 0
	s_mov_b32 s30, exec_lo
	s_cselect_b32 s29, -1, 0
	s_add_u32 s20, s16, 0xc4
	s_addc_u32 s21, s17, 0
	s_min_u32 s28, s23, 15
	s_cmp_gt_u32 s22, 1
	s_cselect_b32 s26, -1, 0
	v_cmpx_gt_i32_e64 s27, v4
	s_cbranch_execz .LBB19_14
; %bb.2:
	s_andn2_b32 vcc_lo, exec_lo, s24
	s_cbranch_vccnz .LBB19_21
; %bb.3:
	s_andn2_b32 vcc_lo, exec_lo, s29
	s_cbranch_vccnz .LBB19_137
; %bb.4:
	s_add_i32 s33, s28, 1
	s_cmp_eq_u32 s23, 2
	s_cbranch_scc1 .LBB19_139
; %bb.5:
	v_mov_b32_e32 v2, 0
	v_mov_b32_e32 v0, 0
	;; [unrolled: 1-line block ×3, first 2 shown]
	s_and_b32 s31, s33, 28
	s_mov_b32 s34, 0
	s_mov_b64 s[0:1], s[16:17]
	s_mov_b64 s[2:3], s[20:21]
.LBB19_6:                               ; =>This Inner Loop Header: Depth=1
	s_clause 0x1
	s_load_dwordx8 s[36:43], s[0:1], 0x4
	s_load_dwordx4 s[52:55], s[0:1], 0x24
	s_load_dwordx8 s[44:51], s[2:3], 0x0
	s_add_u32 s0, s0, 48
	s_addc_u32 s1, s1, 0
	s_add_i32 s34, s34, 4
	s_add_u32 s2, s2, 32
	s_addc_u32 s3, s3, 0
	s_cmp_lg_u32 s31, s34
	s_waitcnt lgkmcnt(0)
	v_mul_hi_u32 v3, s37, v1
	v_add_nc_u32_e32 v3, v1, v3
	v_lshrrev_b32_e32 v3, s38, v3
	v_mul_hi_u32 v5, s40, v3
	v_mul_lo_u32 v7, v3, s36
	v_add_nc_u32_e32 v5, v3, v5
	v_sub_nc_u32_e32 v1, v1, v7
	v_lshrrev_b32_e32 v5, s41, v5
	v_mul_lo_u32 v7, v1, s44
	v_mul_lo_u32 v9, v1, s45
	v_mul_hi_u32 v6, s43, v5
	v_add_nc_u32_e32 v6, v5, v6
	v_lshrrev_b32_e32 v6, s52, v6
	v_mul_hi_u32 v8, s54, v6
	v_mul_lo_u32 v10, v6, s42
	v_add_nc_u32_e32 v1, v6, v8
	v_mul_lo_u32 v8, v5, s39
	v_sub_nc_u32_e32 v5, v5, v10
	v_lshrrev_b32_e32 v1, s55, v1
	v_mul_lo_u32 v10, v5, s48
	v_mul_lo_u32 v5, v5, s49
	v_sub_nc_u32_e32 v3, v3, v8
	v_mul_lo_u32 v11, v1, s53
	v_mul_lo_u32 v8, v3, s46
	;; [unrolled: 1-line block ×3, first 2 shown]
	v_sub_nc_u32_e32 v6, v6, v11
	v_add3_u32 v0, v7, v0, v8
	v_mul_lo_u32 v11, v6, s50
	v_mul_lo_u32 v6, v6, s51
	v_add3_u32 v2, v9, v2, v3
	v_add3_u32 v0, v10, v0, v11
	;; [unrolled: 1-line block ×3, first 2 shown]
	s_cbranch_scc1 .LBB19_6
	s_branch .LBB19_140
.LBB19_7:
	s_andn2_saveexec_b32 s0, s25
	s_cbranch_execz .LBB19_197
.LBB19_8:
	v_cndmask_b32_e64 v5, 0, 1, s24
	s_andn2_b32 vcc_lo, exec_lo, s24
	s_cbranch_vccnz .LBB19_20
; %bb.9:
	s_cmp_lg_u32 s22, 0
	s_waitcnt lgkmcnt(0)
	s_mov_b32 s4, 0
	s_cbranch_scc0 .LBB19_23
; %bb.10:
	s_min_u32 s6, s23, 15
	s_add_i32 s6, s6, 1
	s_cmp_eq_u32 s23, 2
	s_cbranch_scc1 .LBB19_24
; %bb.11:
	v_mov_b32_e32 v11, 0
	v_mov_b32_e32 v0, 0
	;; [unrolled: 1-line block ×3, first 2 shown]
	s_and_b32 s5, s6, 28
	s_add_u32 s0, s16, 0xc4
	s_addc_u32 s1, s17, 0
	s_mov_b32 s7, 0
	s_mov_b64 s[2:3], s[16:17]
.LBB19_12:                              ; =>This Inner Loop Header: Depth=1
	s_clause 0x1
	s_load_dwordx8 s[8:15], s[2:3], 0x4
	s_load_dwordx4 s[36:39], s[2:3], 0x24
	s_load_dwordx8 s[24:31], s[0:1], 0x0
	s_add_u32 s2, s2, 48
	s_addc_u32 s3, s3, 0
	s_add_i32 s7, s7, 4
	s_add_u32 s0, s0, 32
	s_addc_u32 s1, s1, 0
	s_cmp_lg_u32 s5, s7
	s_waitcnt lgkmcnt(0)
	v_mul_hi_u32 v2, s9, v1
	v_add_nc_u32_e32 v2, v1, v2
	v_lshrrev_b32_e32 v2, s10, v2
	v_mul_hi_u32 v3, s12, v2
	v_mul_lo_u32 v7, v2, s8
	v_add_nc_u32_e32 v3, v2, v3
	v_sub_nc_u32_e32 v1, v1, v7
	v_lshrrev_b32_e32 v3, s13, v3
	v_mul_lo_u32 v7, v1, s24
	v_mul_lo_u32 v9, v1, s25
	v_mul_hi_u32 v6, s15, v3
	v_add_nc_u32_e32 v6, v3, v6
	v_lshrrev_b32_e32 v6, s36, v6
	v_mul_hi_u32 v8, s38, v6
	v_mul_lo_u32 v10, v6, s14
	v_add_nc_u32_e32 v1, v6, v8
	v_mul_lo_u32 v8, v3, s11
	v_sub_nc_u32_e32 v3, v3, v10
	v_lshrrev_b32_e32 v1, s39, v1
	v_mul_lo_u32 v10, v3, s28
	v_mul_lo_u32 v3, v3, s29
	v_sub_nc_u32_e32 v2, v2, v8
	v_mul_lo_u32 v12, v1, s37
	v_mul_lo_u32 v8, v2, s26
	;; [unrolled: 1-line block ×3, first 2 shown]
	v_sub_nc_u32_e32 v6, v6, v12
	v_add3_u32 v0, v7, v0, v8
	v_mul_lo_u32 v12, v6, s30
	v_mul_lo_u32 v6, v6, s31
	v_add3_u32 v2, v9, v11, v2
	v_add3_u32 v0, v10, v0, v12
	;; [unrolled: 1-line block ×3, first 2 shown]
	s_cbranch_scc1 .LBB19_12
; %bb.13:
	s_and_b32 s6, s6, 3
	s_cmp_eq_u32 s6, 0
	s_cbranch_scc0 .LBB19_25
	s_branch .LBB19_27
.LBB19_14:
	s_or_b32 exec_lo, exec_lo, s30
	s_mov_b32 s30, exec_lo
	v_cmpx_gt_i32_e64 s27, v4
	s_cbranch_execz .LBB19_163
.LBB19_15:
	s_andn2_b32 vcc_lo, exec_lo, s24
	s_cbranch_vccnz .LBB19_22
; %bb.16:
	s_andn2_b32 vcc_lo, exec_lo, s29
	s_cbranch_vccnz .LBB19_138
; %bb.17:
	s_add_i32 s33, s28, 1
	s_cmp_eq_u32 s23, 2
	s_cbranch_scc1 .LBB19_171
; %bb.18:
	v_mov_b32_e32 v2, 0
	v_mov_b32_e32 v0, 0
	v_mov_b32_e32 v1, v4
	s_and_b32 s31, s33, 28
	s_mov_b32 s34, 0
	s_mov_b64 s[0:1], s[16:17]
	s_mov_b64 s[2:3], s[20:21]
.LBB19_19:                              ; =>This Inner Loop Header: Depth=1
	s_clause 0x1
	s_load_dwordx8 s[36:43], s[0:1], 0x4
	s_load_dwordx4 s[52:55], s[0:1], 0x24
	s_load_dwordx8 s[44:51], s[2:3], 0x0
	s_add_u32 s0, s0, 48
	s_addc_u32 s1, s1, 0
	s_add_i32 s34, s34, 4
	s_add_u32 s2, s2, 32
	s_addc_u32 s3, s3, 0
	s_cmp_eq_u32 s31, s34
	s_waitcnt lgkmcnt(0)
	v_mul_hi_u32 v3, s37, v1
	v_add_nc_u32_e32 v3, v1, v3
	v_lshrrev_b32_e32 v3, s38, v3
	v_mul_hi_u32 v5, s40, v3
	v_mul_lo_u32 v7, v3, s36
	v_add_nc_u32_e32 v5, v3, v5
	v_sub_nc_u32_e32 v1, v1, v7
	v_lshrrev_b32_e32 v5, s41, v5
	v_mul_lo_u32 v7, v1, s44
	v_mul_lo_u32 v9, v1, s45
	v_mul_hi_u32 v6, s43, v5
	v_add_nc_u32_e32 v6, v5, v6
	v_lshrrev_b32_e32 v6, s52, v6
	v_mul_hi_u32 v8, s54, v6
	v_mul_lo_u32 v10, v6, s42
	v_add_nc_u32_e32 v1, v6, v8
	v_mul_lo_u32 v8, v5, s39
	v_sub_nc_u32_e32 v5, v5, v10
	v_lshrrev_b32_e32 v1, s55, v1
	v_mul_lo_u32 v10, v5, s48
	v_mul_lo_u32 v5, v5, s49
	v_sub_nc_u32_e32 v3, v3, v8
	v_mul_lo_u32 v11, v1, s53
	v_mul_lo_u32 v8, v3, s46
	;; [unrolled: 1-line block ×3, first 2 shown]
	v_sub_nc_u32_e32 v6, v6, v11
	v_add3_u32 v0, v7, v0, v8
	v_mul_lo_u32 v11, v6, s50
	v_mul_lo_u32 v6, v6, s51
	v_add3_u32 v2, v9, v2, v3
	v_add3_u32 v0, v10, v0, v11
	;; [unrolled: 1-line block ×3, first 2 shown]
	s_cbranch_scc0 .LBB19_19
	s_branch .LBB19_172
.LBB19_20:
	s_waitcnt lgkmcnt(0)
	s_mov_b32 s4, -1
                                        ; implicit-def: $vgpr0
                                        ; implicit-def: $vgpr11
	s_branch .LBB19_27
.LBB19_21:
                                        ; implicit-def: $vgpr0
                                        ; implicit-def: $vgpr2
	s_branch .LBB19_144
.LBB19_22:
                                        ; implicit-def: $vgpr0
                                        ; implicit-def: $vgpr2
	s_branch .LBB19_176
.LBB19_23:
	v_mov_b32_e32 v0, 0
	v_mov_b32_e32 v11, 0
	s_branch .LBB19_27
.LBB19_24:
	v_mov_b32_e32 v0, 0
	v_mov_b32_e32 v11, 0
	;; [unrolled: 1-line block ×3, first 2 shown]
	s_mov_b32 s5, 0
	s_and_b32 s6, s6, 3
	s_cmp_eq_u32 s6, 0
	s_cbranch_scc1 .LBB19_27
.LBB19_25:
	s_lshl_b32 s0, s5, 3
	s_mul_i32 s2, s5, 12
	s_add_u32 s0, s16, s0
	s_addc_u32 s1, s17, 0
	s_add_u32 s0, s0, 0xc4
	s_addc_u32 s1, s1, 0
	s_add_u32 s2, s16, s2
	s_addc_u32 s3, s17, 0
	.p2align	6
.LBB19_26:                              ; =>This Inner Loop Header: Depth=1
	s_clause 0x1
	s_load_dwordx2 s[8:9], s[2:3], 0x4
	s_load_dword s5, s[2:3], 0xc
	s_load_dwordx2 s[10:11], s[0:1], 0x0
	s_add_u32 s2, s2, 12
	s_addc_u32 s3, s3, 0
	s_add_u32 s0, s0, 8
	s_addc_u32 s1, s1, 0
	s_add_i32 s6, s6, -1
	s_cmp_lg_u32 s6, 0
	s_waitcnt lgkmcnt(0)
	v_mul_hi_u32 v2, s9, v1
	v_add_nc_u32_e32 v2, v1, v2
	v_lshrrev_b32_e32 v2, s5, v2
	v_mul_lo_u32 v3, v2, s8
	v_sub_nc_u32_e32 v3, v1, v3
	v_mad_u64_u32 v[0:1], null, v3, s10, v[0:1]
	v_mad_u64_u32 v[11:12], null, v3, s11, v[11:12]
	v_mov_b32_e32 v1, v2
	s_cbranch_scc1 .LBB19_26
.LBB19_27:
	s_andn2_b32 vcc_lo, exec_lo, s4
	s_cbranch_vccnz .LBB19_30
; %bb.28:
	s_clause 0x1
	s_load_dwordx4 s[0:3], s[16:17], 0x4
	s_load_dwordx2 s[4:5], s[16:17], 0xc4
	s_cmp_lt_u32 s22, 2
	s_waitcnt lgkmcnt(0)
	v_mul_hi_u32 v0, s1, v4
	v_add_nc_u32_e32 v0, v4, v0
	v_lshrrev_b32_e32 v1, s2, v0
	v_mul_lo_u32 v0, v1, s0
	v_sub_nc_u32_e32 v2, v4, v0
	v_mul_lo_u32 v0, v2, s4
	v_mul_lo_u32 v11, v2, s5
	s_cbranch_scc1 .LBB19_30
; %bb.29:
	s_clause 0x1
	s_load_dwordx4 s[0:3], s[16:17], 0x10
	s_load_dwordx2 s[4:5], s[16:17], 0xcc
	s_waitcnt lgkmcnt(0)
	v_mul_hi_u32 v2, s1, v1
	v_add_nc_u32_e32 v2, v1, v2
	v_lshrrev_b32_e32 v2, s2, v2
	v_mul_lo_u32 v2, v2, s0
	v_sub_nc_u32_e32 v2, v1, v2
	v_mad_u64_u32 v[0:1], null, v2, s4, v[0:1]
	v_mad_u64_u32 v[11:12], null, v2, s5, v[11:12]
.LBB19_30:
	v_cmp_ne_u32_e32 vcc_lo, 1, v5
	v_add_nc_u32_e32 v3, 0x80, v4
	s_cbranch_vccnz .LBB19_36
; %bb.31:
	s_cmp_lg_u32 s22, 0
	s_mov_b32 s4, 0
	s_cbranch_scc0 .LBB19_37
; %bb.32:
	s_min_u32 s6, s23, 15
	s_add_i32 s6, s6, 1
	s_cmp_eq_u32 s23, 2
	s_cbranch_scc1 .LBB19_38
; %bb.33:
	v_mov_b32_e32 v9, 0
	v_mov_b32_e32 v1, 0
	;; [unrolled: 1-line block ×3, first 2 shown]
	s_and_b32 s5, s6, 28
	s_add_u32 s0, s16, 0xc4
	s_addc_u32 s1, s17, 0
	s_mov_b32 s7, 0
	s_mov_b64 s[2:3], s[16:17]
.LBB19_34:                              ; =>This Inner Loop Header: Depth=1
	s_clause 0x1
	s_load_dwordx8 s[8:15], s[2:3], 0x4
	s_load_dwordx4 s[36:39], s[2:3], 0x24
	s_load_dwordx8 s[24:31], s[0:1], 0x0
	s_add_u32 s2, s2, 48
	s_addc_u32 s3, s3, 0
	s_add_i32 s7, s7, 4
	s_add_u32 s0, s0, 32
	s_addc_u32 s1, s1, 0
	s_cmp_lg_u32 s5, s7
	s_waitcnt lgkmcnt(0)
	v_mul_hi_u32 v6, s9, v2
	v_add_nc_u32_e32 v6, v2, v6
	v_lshrrev_b32_e32 v6, s10, v6
	v_mul_hi_u32 v7, s12, v6
	v_mul_lo_u32 v10, v6, s8
	v_add_nc_u32_e32 v7, v6, v7
	v_sub_nc_u32_e32 v2, v2, v10
	v_lshrrev_b32_e32 v7, s13, v7
	v_mul_lo_u32 v10, v2, s24
	v_mul_lo_u32 v14, v2, s25
	v_mul_hi_u32 v8, s15, v7
	v_add_nc_u32_e32 v8, v7, v8
	v_lshrrev_b32_e32 v8, s36, v8
	v_mul_hi_u32 v12, s38, v8
	v_mul_lo_u32 v15, v8, s14
	v_add_nc_u32_e32 v2, v8, v12
	v_mul_lo_u32 v12, v7, s11
	v_sub_nc_u32_e32 v7, v7, v15
	v_lshrrev_b32_e32 v2, s39, v2
	v_mul_lo_u32 v15, v7, s28
	v_mul_lo_u32 v7, v7, s29
	v_sub_nc_u32_e32 v6, v6, v12
	v_mul_lo_u32 v16, v2, s37
	v_mul_lo_u32 v12, v6, s26
	;; [unrolled: 1-line block ×3, first 2 shown]
	v_sub_nc_u32_e32 v8, v8, v16
	v_add3_u32 v1, v10, v1, v12
	v_mul_lo_u32 v16, v8, s30
	v_mul_lo_u32 v8, v8, s31
	v_add3_u32 v6, v14, v9, v6
	v_add3_u32 v1, v15, v1, v16
	;; [unrolled: 1-line block ×3, first 2 shown]
	s_cbranch_scc1 .LBB19_34
; %bb.35:
	s_and_b32 s6, s6, 3
	s_cmp_eq_u32 s6, 0
	s_cbranch_scc0 .LBB19_39
	s_branch .LBB19_41
.LBB19_36:
	s_mov_b32 s4, -1
                                        ; implicit-def: $vgpr1
                                        ; implicit-def: $vgpr9
	s_branch .LBB19_41
.LBB19_37:
	v_mov_b32_e32 v1, 0
	v_mov_b32_e32 v9, 0
	s_branch .LBB19_41
.LBB19_38:
	v_mov_b32_e32 v1, 0
	v_mov_b32_e32 v9, 0
	;; [unrolled: 1-line block ×3, first 2 shown]
	s_mov_b32 s5, 0
	s_and_b32 s6, s6, 3
	s_cmp_eq_u32 s6, 0
	s_cbranch_scc1 .LBB19_41
.LBB19_39:
	s_lshl_b32 s0, s5, 3
	s_mul_i32 s2, s5, 12
	s_add_u32 s0, s16, s0
	s_addc_u32 s1, s17, 0
	s_add_u32 s0, s0, 0xc4
	s_addc_u32 s1, s1, 0
	;; [unrolled: 2-line block ×3, first 2 shown]
	.p2align	6
.LBB19_40:                              ; =>This Inner Loop Header: Depth=1
	s_clause 0x1
	s_load_dwordx2 s[8:9], s[2:3], 0x4
	s_load_dword s5, s[2:3], 0xc
	s_load_dwordx2 s[10:11], s[0:1], 0x0
	s_add_u32 s2, s2, 12
	s_addc_u32 s3, s3, 0
	s_add_u32 s0, s0, 8
	s_addc_u32 s1, s1, 0
	s_add_i32 s6, s6, -1
	s_cmp_lg_u32 s6, 0
	s_waitcnt lgkmcnt(0)
	v_mul_hi_u32 v6, s9, v2
	v_add_nc_u32_e32 v6, v2, v6
	v_lshrrev_b32_e32 v6, s5, v6
	v_mul_lo_u32 v7, v6, s8
	v_sub_nc_u32_e32 v7, v2, v7
	v_mad_u64_u32 v[1:2], null, v7, s10, v[1:2]
	v_mad_u64_u32 v[9:10], null, v7, s11, v[9:10]
	v_mov_b32_e32 v2, v6
	s_cbranch_scc1 .LBB19_40
.LBB19_41:
	s_andn2_b32 vcc_lo, exec_lo, s4
	s_cbranch_vccnz .LBB19_44
; %bb.42:
	s_clause 0x1
	s_load_dwordx4 s[0:3], s[16:17], 0x4
	s_load_dwordx2 s[4:5], s[16:17], 0xc4
	s_cmp_lt_u32 s22, 2
	s_waitcnt lgkmcnt(0)
	v_mul_hi_u32 v1, s1, v3
	v_add_nc_u32_e32 v1, v3, v1
	v_lshrrev_b32_e32 v2, s2, v1
	v_mul_lo_u32 v1, v2, s0
	v_sub_nc_u32_e32 v3, v3, v1
	v_mul_lo_u32 v1, v3, s4
	v_mul_lo_u32 v9, v3, s5
	s_cbranch_scc1 .LBB19_44
; %bb.43:
	s_clause 0x1
	s_load_dwordx4 s[0:3], s[16:17], 0x10
	s_load_dwordx2 s[4:5], s[16:17], 0xcc
	s_waitcnt lgkmcnt(0)
	v_mul_hi_u32 v3, s1, v2
	v_add_nc_u32_e32 v3, v2, v3
	v_lshrrev_b32_e32 v3, s2, v3
	v_mul_lo_u32 v3, v3, s0
	v_sub_nc_u32_e32 v3, v2, v3
	v_mad_u64_u32 v[1:2], null, v3, s4, v[1:2]
	v_mad_u64_u32 v[9:10], null, v3, s5, v[9:10]
.LBB19_44:
	v_cmp_ne_u32_e32 vcc_lo, 1, v5
	v_add_nc_u32_e32 v4, 0x100, v4
	s_cbranch_vccnz .LBB19_50
; %bb.45:
	s_cmp_lg_u32 s22, 0
	s_mov_b32 s4, 0
	s_cbranch_scc0 .LBB19_51
; %bb.46:
	s_min_u32 s6, s23, 15
	s_add_i32 s6, s6, 1
	s_cmp_eq_u32 s23, 2
	s_cbranch_scc1 .LBB19_52
; %bb.47:
	v_mov_b32_e32 v7, 0
	v_mov_b32_e32 v2, 0
	v_mov_b32_e32 v3, v4
	s_and_b32 s5, s6, 28
	s_add_u32 s0, s16, 0xc4
	s_addc_u32 s1, s17, 0
	s_mov_b32 s7, 0
	s_mov_b64 s[2:3], s[16:17]
.LBB19_48:                              ; =>This Inner Loop Header: Depth=1
	s_clause 0x1
	s_load_dwordx8 s[8:15], s[2:3], 0x4
	s_load_dwordx4 s[36:39], s[2:3], 0x24
	s_load_dwordx8 s[24:31], s[0:1], 0x0
	s_add_u32 s2, s2, 48
	s_addc_u32 s3, s3, 0
	s_add_i32 s7, s7, 4
	s_add_u32 s0, s0, 32
	s_addc_u32 s1, s1, 0
	s_cmp_lg_u32 s5, s7
	s_waitcnt lgkmcnt(0)
	v_mul_hi_u32 v6, s9, v3
	v_add_nc_u32_e32 v6, v3, v6
	v_lshrrev_b32_e32 v6, s10, v6
	v_mul_hi_u32 v8, s12, v6
	v_mul_lo_u32 v12, v6, s8
	v_add_nc_u32_e32 v8, v6, v8
	v_sub_nc_u32_e32 v3, v3, v12
	v_lshrrev_b32_e32 v8, s13, v8
	v_mul_lo_u32 v12, v3, s24
	v_mul_lo_u32 v15, v3, s25
	v_mul_hi_u32 v10, s15, v8
	v_add_nc_u32_e32 v10, v8, v10
	v_lshrrev_b32_e32 v10, s36, v10
	v_mul_hi_u32 v14, s38, v10
	v_mul_lo_u32 v16, v10, s14
	v_add_nc_u32_e32 v3, v10, v14
	v_mul_lo_u32 v14, v8, s11
	v_sub_nc_u32_e32 v8, v8, v16
	v_lshrrev_b32_e32 v3, s39, v3
	v_mul_lo_u32 v16, v8, s28
	v_mul_lo_u32 v8, v8, s29
	v_sub_nc_u32_e32 v6, v6, v14
	v_mul_lo_u32 v17, v3, s37
	v_mul_lo_u32 v14, v6, s26
	;; [unrolled: 1-line block ×3, first 2 shown]
	v_sub_nc_u32_e32 v10, v10, v17
	v_add3_u32 v2, v12, v2, v14
	v_mul_lo_u32 v17, v10, s30
	v_mul_lo_u32 v10, v10, s31
	v_add3_u32 v6, v15, v7, v6
	v_add3_u32 v2, v16, v2, v17
	;; [unrolled: 1-line block ×3, first 2 shown]
	s_cbranch_scc1 .LBB19_48
; %bb.49:
	s_and_b32 s6, s6, 3
	s_cmp_eq_u32 s6, 0
	s_cbranch_scc0 .LBB19_53
	s_branch .LBB19_55
.LBB19_50:
	s_mov_b32 s4, -1
                                        ; implicit-def: $vgpr2
                                        ; implicit-def: $vgpr7
	s_branch .LBB19_55
.LBB19_51:
	v_mov_b32_e32 v2, 0
	v_mov_b32_e32 v7, 0
	s_branch .LBB19_55
.LBB19_52:
	v_mov_b32_e32 v2, 0
	v_mov_b32_e32 v7, 0
	v_mov_b32_e32 v3, v4
	s_mov_b32 s5, 0
	s_and_b32 s6, s6, 3
	s_cmp_eq_u32 s6, 0
	s_cbranch_scc1 .LBB19_55
.LBB19_53:
	s_lshl_b32 s0, s5, 3
	s_mul_i32 s2, s5, 12
	s_add_u32 s0, s16, s0
	s_addc_u32 s1, s17, 0
	s_add_u32 s0, s0, 0xc4
	s_addc_u32 s1, s1, 0
	;; [unrolled: 2-line block ×3, first 2 shown]
	.p2align	6
.LBB19_54:                              ; =>This Inner Loop Header: Depth=1
	s_clause 0x1
	s_load_dwordx2 s[8:9], s[2:3], 0x4
	s_load_dword s5, s[2:3], 0xc
	s_load_dwordx2 s[10:11], s[0:1], 0x0
	s_add_u32 s2, s2, 12
	s_addc_u32 s3, s3, 0
	s_add_u32 s0, s0, 8
	s_addc_u32 s1, s1, 0
	s_add_i32 s6, s6, -1
	s_cmp_lg_u32 s6, 0
	s_waitcnt lgkmcnt(0)
	v_mul_hi_u32 v6, s9, v3
	v_add_nc_u32_e32 v6, v3, v6
	v_lshrrev_b32_e32 v6, s5, v6
	v_mul_lo_u32 v8, v6, s8
	v_sub_nc_u32_e32 v8, v3, v8
	v_mad_u64_u32 v[2:3], null, v8, s10, v[2:3]
	v_mad_u64_u32 v[7:8], null, v8, s11, v[7:8]
	v_mov_b32_e32 v3, v6
	s_cbranch_scc1 .LBB19_54
.LBB19_55:
	s_andn2_b32 vcc_lo, exec_lo, s4
	s_cbranch_vccnz .LBB19_58
; %bb.56:
	s_clause 0x1
	s_load_dwordx4 s[0:3], s[16:17], 0x4
	s_load_dwordx2 s[4:5], s[16:17], 0xc4
	s_cmp_lt_u32 s22, 2
	s_waitcnt lgkmcnt(0)
	v_mul_hi_u32 v2, s1, v4
	v_add_nc_u32_e32 v2, v4, v2
	v_lshrrev_b32_e32 v3, s2, v2
	v_mul_lo_u32 v2, v3, s0
	v_sub_nc_u32_e32 v4, v4, v2
	v_mul_lo_u32 v2, v4, s4
	v_mul_lo_u32 v7, v4, s5
	s_cbranch_scc1 .LBB19_58
; %bb.57:
	s_clause 0x1
	s_load_dwordx4 s[0:3], s[16:17], 0x10
	s_load_dwordx2 s[4:5], s[16:17], 0xcc
	s_waitcnt lgkmcnt(0)
	v_mul_hi_u32 v4, s1, v3
	v_add_nc_u32_e32 v4, v3, v4
	v_lshrrev_b32_e32 v4, s2, v4
	v_mul_lo_u32 v4, v4, s0
	v_sub_nc_u32_e32 v4, v3, v4
	v_mad_u64_u32 v[2:3], null, v4, s4, v[2:3]
	v_mad_u64_u32 v[7:8], null, v4, s5, v[7:8]
.LBB19_58:
	v_cmp_ne_u32_e32 vcc_lo, 1, v5
	s_cbranch_vccnz .LBB19_64
; %bb.59:
	s_cmp_lg_u32 s22, 0
	s_mov_b32 s4, 0
	s_cbranch_scc0 .LBB19_65
; %bb.60:
	s_min_u32 s6, s23, 15
	s_add_i32 s6, s6, 1
	s_cmp_eq_u32 s23, 2
	s_cbranch_scc1 .LBB19_66
; %bb.61:
	v_mov_b32_e32 v5, 0
	v_mov_b32_e32 v3, 0
	v_mov_b32_e32 v4, v13
	s_and_b32 s5, s6, 28
	s_add_u32 s0, s16, 0xc4
	s_addc_u32 s1, s17, 0
	s_mov_b32 s7, 0
	s_mov_b64 s[2:3], s[16:17]
.LBB19_62:                              ; =>This Inner Loop Header: Depth=1
	s_clause 0x1
	s_load_dwordx8 s[8:15], s[2:3], 0x4
	s_load_dwordx4 s[36:39], s[2:3], 0x24
	s_load_dwordx8 s[24:31], s[0:1], 0x0
	s_add_u32 s2, s2, 48
	s_addc_u32 s3, s3, 0
	s_add_i32 s7, s7, 4
	s_add_u32 s0, s0, 32
	s_addc_u32 s1, s1, 0
	s_cmp_lg_u32 s5, s7
	s_waitcnt lgkmcnt(0)
	v_mul_hi_u32 v6, s9, v4
	v_add_nc_u32_e32 v6, v4, v6
	v_lshrrev_b32_e32 v6, s10, v6
	v_mul_hi_u32 v8, s12, v6
	v_mul_lo_u32 v12, v6, s8
	v_add_nc_u32_e32 v8, v6, v8
	v_sub_nc_u32_e32 v4, v4, v12
	v_lshrrev_b32_e32 v8, s13, v8
	v_mul_lo_u32 v12, v4, s24
	v_mul_lo_u32 v15, v4, s25
	v_mul_hi_u32 v10, s15, v8
	v_add_nc_u32_e32 v10, v8, v10
	v_lshrrev_b32_e32 v10, s36, v10
	v_mul_hi_u32 v14, s38, v10
	v_mul_lo_u32 v16, v10, s14
	v_add_nc_u32_e32 v4, v10, v14
	v_mul_lo_u32 v14, v8, s11
	v_sub_nc_u32_e32 v8, v8, v16
	v_lshrrev_b32_e32 v4, s39, v4
	v_mul_lo_u32 v16, v8, s28
	v_mul_lo_u32 v8, v8, s29
	v_sub_nc_u32_e32 v6, v6, v14
	v_mul_lo_u32 v17, v4, s37
	v_mul_lo_u32 v14, v6, s26
	;; [unrolled: 1-line block ×3, first 2 shown]
	v_sub_nc_u32_e32 v10, v10, v17
	v_add3_u32 v3, v12, v3, v14
	v_mul_lo_u32 v17, v10, s30
	v_mul_lo_u32 v10, v10, s31
	v_add3_u32 v5, v15, v5, v6
	v_add3_u32 v3, v16, v3, v17
	;; [unrolled: 1-line block ×3, first 2 shown]
	s_cbranch_scc1 .LBB19_62
; %bb.63:
	s_and_b32 s6, s6, 3
	s_cmp_eq_u32 s6, 0
	s_cbranch_scc0 .LBB19_67
	s_branch .LBB19_69
.LBB19_64:
	s_mov_b32 s4, -1
                                        ; implicit-def: $vgpr3
                                        ; implicit-def: $vgpr5
	s_branch .LBB19_69
.LBB19_65:
	v_mov_b32_e32 v3, 0
	v_mov_b32_e32 v5, 0
	s_branch .LBB19_69
.LBB19_66:
	v_mov_b32_e32 v3, 0
	v_mov_b32_e32 v5, 0
	;; [unrolled: 1-line block ×3, first 2 shown]
	s_mov_b32 s5, 0
	s_and_b32 s6, s6, 3
	s_cmp_eq_u32 s6, 0
	s_cbranch_scc1 .LBB19_69
.LBB19_67:
	s_lshl_b32 s0, s5, 3
	s_mul_i32 s2, s5, 12
	s_add_u32 s0, s16, s0
	s_addc_u32 s1, s17, 0
	s_add_u32 s0, s0, 0xc4
	s_addc_u32 s1, s1, 0
	;; [unrolled: 2-line block ×3, first 2 shown]
	.p2align	6
.LBB19_68:                              ; =>This Inner Loop Header: Depth=1
	s_clause 0x1
	s_load_dwordx2 s[8:9], s[2:3], 0x4
	s_load_dword s5, s[2:3], 0xc
	s_load_dwordx2 s[10:11], s[0:1], 0x0
	s_add_u32 s2, s2, 12
	s_addc_u32 s3, s3, 0
	s_add_u32 s0, s0, 8
	s_addc_u32 s1, s1, 0
	s_add_i32 s6, s6, -1
	s_cmp_lg_u32 s6, 0
	s_waitcnt lgkmcnt(0)
	v_mul_hi_u32 v6, s9, v4
	v_add_nc_u32_e32 v6, v4, v6
	v_lshrrev_b32_e32 v8, s5, v6
	v_mul_lo_u32 v6, v8, s8
	v_sub_nc_u32_e32 v6, v4, v6
	v_mad_u64_u32 v[3:4], null, v6, s10, v[3:4]
	v_mad_u64_u32 v[5:6], null, v6, s11, v[5:6]
	v_mov_b32_e32 v4, v8
	s_cbranch_scc1 .LBB19_68
.LBB19_69:
	s_andn2_b32 vcc_lo, exec_lo, s4
	s_cbranch_vccnz .LBB19_72
; %bb.70:
	s_clause 0x1
	s_load_dwordx4 s[0:3], s[16:17], 0x4
	s_load_dwordx2 s[4:5], s[16:17], 0xc4
	s_cmp_lt_u32 s22, 2
	s_waitcnt lgkmcnt(0)
	v_mul_hi_u32 v3, s1, v13
	v_add_nc_u32_e32 v3, v13, v3
	v_lshrrev_b32_e32 v4, s2, v3
	v_mul_lo_u32 v3, v4, s0
	v_sub_nc_u32_e32 v5, v13, v3
	v_mul_lo_u32 v3, v5, s4
	v_mul_lo_u32 v5, v5, s5
	s_cbranch_scc1 .LBB19_72
; %bb.71:
	s_clause 0x1
	s_load_dwordx4 s[0:3], s[16:17], 0x10
	s_load_dwordx2 s[4:5], s[16:17], 0xcc
	s_waitcnt lgkmcnt(0)
	v_mul_hi_u32 v6, s1, v4
	v_add_nc_u32_e32 v6, v4, v6
	v_lshrrev_b32_e32 v6, s2, v6
	v_mul_lo_u32 v6, v6, s0
	v_sub_nc_u32_e32 v6, v4, v6
	v_mad_u64_u32 v[3:4], null, v6, s4, v[3:4]
	v_mad_u64_u32 v[5:6], null, v6, s5, v[5:6]
.LBB19_72:
	s_load_dwordx4 s[4:7], s[16:17], 0x148
                                        ; implicit-def: $vgpr4
	s_mov_b32 s0, exec_lo
	s_waitcnt lgkmcnt(0)
	global_load_dword v6, v11, s[6:7]
	s_waitcnt vmcnt(0)
	v_cmpx_ge_f32_e32 0x40a00000, v6
	s_xor_b32 s3, exec_lo, s0
	s_cbranch_execz .LBB19_78
; %bb.73:
	v_mov_b32_e32 v4, 0xff800000
	s_mov_b32 s8, exec_lo
	v_cmpx_neq_f32_e32 0, v6
	s_cbranch_execz .LBB19_77
; %bb.74:
	v_mov_b32_e32 v4, 0x7fc00000
	s_mov_b32 s9, exec_lo
	v_cmpx_nge_f32_e32 0, v6
	s_cbranch_execz .LBB19_76
; %bb.75:
	v_mul_f32_e32 v4, v6, v6
	v_cmp_gt_f32_e64 s0, 0x800000, v6
	v_div_scale_f32 v17, null, v6, v6, -1.0
	v_div_scale_f32 v26, s2, -1.0, v6, -1.0
	v_fmaak_f32 v8, 0, v4, 0x4414934d
	v_fmaak_f32 v10, 0, v4, 0x441b3589
	;; [unrolled: 1-line block ×4, first 2 shown]
	v_cndmask_b32_e64 v16, 0, 32, s0
	v_fmaak_f32 v8, v4, v8, 0x48660b06
	v_fmaak_f32 v10, v4, v10, 0x487af6d0
	;; [unrolled: 1-line block ×4, first 2 shown]
	v_rcp_f32_e32 v18, v17
	v_fmaak_f32 v8, v4, v8, 0x4c8c277d
	v_fmaak_f32 v10, v4, v10, 0x4c9f4aa7
	v_fmaak_f32 v11, v4, v11, 0x56d04aa6
	v_fmaak_f32 v12, v4, v12, 0xd6845497
	v_ldexp_f32 v16, v6, v16
	v_fmaak_f32 v8, v4, v8, 0x508bc61d
	v_fmaak_f32 v10, v4, v10, 0x50a509fc
	;; [unrolled: 1-line block ×4, first 2 shown]
	v_log_f32_e32 v16, v16
	v_fmaak_f32 v8, v4, v8, 0x5461faf8
	v_fmaak_f32 v10, v4, v10, 0x548a37dc
	;; [unrolled: 1-line block ×3, first 2 shown]
	v_fma_f32 v23, -v17, v18, 1.0
	v_fmaak_f32 v8, v4, v8, 0x580d1937
	v_fmaak_f32 v10, v4, v10, 0x58325852
	;; [unrolled: 1-line block ×3, first 2 shown]
	v_fmac_f32_e32 v18, v23, v18
	v_mul_f32_e32 v27, 0x3f317217, v16
	v_fmaak_f32 v8, v4, v8, 0x5b741f1e
	v_fmaak_f32 v10, v4, v10, 0x5b9f0600
	v_fma_f32 v23, 0x3f317217, v16, -v27
	v_fmaak_f32 v8, v4, v8, 0x5e5c878d
	v_fmaak_f32 v4, v4, v10, 0x5e93bcac
	v_div_scale_f32 v10, null, v8, v8, v11
	v_div_scale_f32 v13, null, v4, v4, v12
	v_div_scale_f32 v21, vcc_lo, v11, v8, v11
	v_rcp_f32_e32 v14, v10
	v_rcp_f32_e32 v15, v13
	v_div_scale_f32 v22, s1, v12, v4, v12
	v_fma_f32 v19, -v10, v14, 1.0
	v_fma_f32 v20, -v13, v15, 1.0
	v_fmac_f32_e32 v14, v19, v14
	v_fmac_f32_e32 v15, v20, v15
	v_mul_f32_e32 v19, v21, v14
	v_mul_f32_e32 v20, v22, v15
	v_fma_f32 v24, -v10, v19, v21
	v_fma_f32 v25, -v13, v20, v22
	v_fmac_f32_e32 v19, v24, v14
	v_fmac_f32_e32 v20, v25, v15
	v_fma_f32 v10, -v10, v19, v21
	v_mul_f32_e32 v21, v26, v18
	v_fma_f32 v13, -v13, v20, v22
	v_div_fmas_f32 v10, v10, v14, v19
	s_mov_b32 vcc_lo, s1
	v_fma_f32 v14, -v17, v21, v26
	v_div_fmas_f32 v13, v13, v15, v20
	v_fmamk_f32 v15, v16, 0x3377d1cf, v23
	v_cmp_gt_f32_e64 vcc_lo, 0x7f800000, |v16|
	v_div_fixup_f32 v8, v10, v8, v11
	v_fmac_f32_e32 v21, v14, v18
	v_div_fixup_f32 v4, v13, v4, v12
	v_fmac_f32_e32 v15, 0x3f317217, v16
	v_fmaak_f32 v12, v6, v6, 0xc16ae95a
	v_fmaak_f32 v13, v6, v6, 0xc244dfb3
	v_fma_f32 v17, -v17, v21, v26
	v_mul_f32_e32 v4, v6, v4
	v_cndmask_b32_e32 v15, v16, v15, vcc_lo
	s_mov_b32 vcc_lo, s2
	v_cndmask_b32_e64 v14, 0, 0x41b17218, s0
	v_mul_f32_e32 v4, v12, v4
	v_div_fmas_f32 v12, v17, v18, v21
	v_sub_f32_e32 v14, v15, v14
	v_mul_f32_e32 v4, v13, v4
	v_div_fixup_f32 v12, v12, v6, -1.0
	v_fmac_f32_e32 v12, v14, v4
	v_mul_f32_e32 v4, 0x3f22f983, v12
	v_fmac_f32_e32 v4, v6, v8
.LBB19_76:
	s_or_b32 exec_lo, exec_lo, s9
.LBB19_77:
	s_or_b32 exec_lo, exec_lo, s8
                                        ; implicit-def: $vgpr6
.LBB19_78:
	s_andn2_saveexec_b32 s3, s3
	s_cbranch_execz .LBB19_88
; %bb.79:
	v_add_f32_e32 v4, 0xc016cbe4, v6
                                        ; implicit-def: $vgpr11
                                        ; implicit-def: $vgpr10
	v_and_b32_e32 v8, 0x7fffffff, v4
	v_cmp_ngt_f32_e64 s2, 0x48000000, |v4|
	v_lshrrev_b32_e32 v13, 23, v8
	s_and_saveexec_b32 s0, s2
	s_xor_b32 s8, exec_lo, s0
	s_cbranch_execz .LBB19_81
; %bb.80:
	s_mov_b32 s0, 0x7fffff
	v_mov_b32_e32 v12, 0
	v_and_or_b32 v20, v8, s0, 0x800000
	v_add_nc_u32_e32 v19, 0xffffff88, v13
	v_mad_u64_u32 v[10:11], null, 0xfe5163ab, v20, 0
	v_cmp_lt_u32_e32 vcc_lo, 63, v19
	v_cndmask_b32_e64 v21, 0, 0xffffffc0, vcc_lo
	v_mad_u64_u32 v[14:15], null, 0x3c439041, v20, v[11:12]
	v_add_nc_u32_e32 v21, v21, v19
	v_mov_b32_e32 v11, v15
	v_cmp_lt_u32_e64 s0, 31, v21
	v_mad_u64_u32 v[15:16], null, 0xdb629599, v20, v[11:12]
	v_cndmask_b32_e64 v22, 0, 0xffffffe0, s0
	v_mov_b32_e32 v11, v16
	v_cndmask_b32_e32 v10, v15, v10, vcc_lo
	v_mad_u64_u32 v[16:17], null, 0xf534ddc0, v20, v[11:12]
	v_mov_b32_e32 v11, v17
	v_cndmask_b32_e32 v14, v16, v14, vcc_lo
	v_mad_u64_u32 v[17:18], null, 0xfc2757d1, v20, v[11:12]
	v_cndmask_b32_e64 v10, v14, v10, s0
	v_mov_b32_e32 v11, v18
	v_mad_u64_u32 v[18:19], null, 0x4e441529, v20, v[11:12]
	v_mov_b32_e32 v11, v19
	v_add_nc_u32_e32 v19, v22, v21
	v_cndmask_b32_e32 v21, v18, v16, vcc_lo
	v_mad_u64_u32 v[11:12], null, 0xa2f9836e, v20, v[11:12]
	v_cmp_lt_u32_e64 s1, 31, v19
	v_cndmask_b32_e64 v20, 0, 0xffffffe0, s1
	v_cndmask_b32_e32 v11, v11, v17, vcc_lo
	v_cndmask_b32_e32 v12, v12, v18, vcc_lo
	;; [unrolled: 1-line block ×3, first 2 shown]
	v_add_nc_u32_e32 v18, v20, v19
	v_cndmask_b32_e64 v16, v11, v21, s0
	v_cndmask_b32_e64 v11, v12, v11, s0
	;; [unrolled: 1-line block ×4, first 2 shown]
	v_sub_nc_u32_e32 v19, 32, v18
	v_cmp_eq_u32_e32 vcc_lo, 0, v18
	v_cndmask_b32_e64 v11, v11, v16, s1
	v_cndmask_b32_e64 v16, v16, v12, s1
	v_cndmask_b32_e64 v12, v12, v17, s1
	v_cndmask_b32_e64 v10, v17, v10, s1
	v_alignbit_b32 v20, v11, v16, v19
	v_alignbit_b32 v15, v16, v12, v19
	;; [unrolled: 1-line block ×3, first 2 shown]
	v_cndmask_b32_e32 v11, v20, v11, vcc_lo
	v_cndmask_b32_e32 v14, v15, v16, vcc_lo
	;; [unrolled: 1-line block ×3, first 2 shown]
	v_bfe_u32 v15, v11, 29, 1
	v_alignbit_b32 v16, v11, v14, 30
	v_alignbit_b32 v14, v14, v12, 30
	;; [unrolled: 1-line block ×3, first 2 shown]
	v_sub_nc_u32_e32 v17, 0, v15
	v_xor_b32_e32 v16, v16, v17
	v_xor_b32_e32 v12, v14, v17
	;; [unrolled: 1-line block ×3, first 2 shown]
	v_lshrrev_b32_e32 v17, 29, v11
	v_lshrrev_b32_e32 v11, 30, v11
	v_ffbh_u32_e32 v18, v16
	v_add_nc_u32_e32 v11, v15, v11
	v_min_u32_e32 v18, 32, v18
	v_sub_nc_u32_e32 v14, 31, v18
	v_lshlrev_b32_e32 v19, 23, v18
	v_alignbit_b32 v16, v16, v12, v14
	v_alignbit_b32 v10, v12, v10, v14
	v_lshlrev_b32_e32 v12, 31, v17
	v_alignbit_b32 v14, v16, v10, 9
	v_or_b32_e32 v17, 0.5, v12
	v_lshrrev_b32_e32 v16, 9, v16
	v_or_b32_e32 v12, 0x33000000, v12
	v_ffbh_u32_e32 v20, v14
	v_sub_nc_u32_e32 v17, v17, v19
	v_min_u32_e32 v19, 32, v20
	v_or_b32_e32 v16, v16, v17
	v_not_b32_e32 v17, v19
	v_mul_f32_e32 v20, 0x3fc90fda, v16
	v_add_lshl_u32 v18, v19, v18, 23
	v_alignbit_b32 v10, v14, v10, v17
	v_fma_f32 v14, 0x3fc90fda, v16, -v20
	v_sub_nc_u32_e32 v12, v12, v18
	v_lshrrev_b32_e32 v10, 9, v10
	v_fmamk_f32 v14, v16, 0x33a22168, v14
	v_or_b32_e32 v10, v12, v10
	v_fmac_f32_e32 v14, 0x3fc90fda, v10
	v_add_f32_e32 v10, v20, v14
	s_or_saveexec_b32 s0, s8
	v_mul_f32_e64 v15, 0x3f22f983, |v4|
	s_xor_b32 exec_lo, exec_lo, s0
	s_branch .LBB19_82
.LBB19_81:
	s_or_saveexec_b32 s0, s8
	v_mul_f32_e64 v15, 0x3f22f983, |v4|
	s_xor_b32 exec_lo, exec_lo, s0
.LBB19_82:
	v_rndne_f32_e32 v11, v15
	v_fma_f32 v10, 0xbfc90fda, v11, |v4|
	v_fmamk_f32 v10, v11, 0xb3a22168, v10
	v_fmamk_f32 v10, v11, 0xa7c234c4, v10
	v_cvt_i32_f32_e32 v11, v11
; %bb.83:
	s_or_b32 exec_lo, exec_lo, s0
                                        ; implicit-def: $vgpr14
                                        ; implicit-def: $vgpr12
	s_and_saveexec_b32 s0, s2
	s_xor_b32 s2, exec_lo, s0
	s_cbranch_execz .LBB19_85
; %bb.84:
	s_mov_b32 s0, 0x7fffff
	v_mov_b32_e32 v16, 0
	v_and_or_b32 v22, v8, s0, 0x800000
	v_mad_u64_u32 v[14:15], null, 0xfe5163ab, v22, 0
	v_mad_u64_u32 v[17:18], null, 0x3c439041, v22, v[15:16]
	v_mov_b32_e32 v15, v18
	v_mad_u64_u32 v[18:19], null, 0xdb629599, v22, v[15:16]
	v_mov_b32_e32 v15, v19
	;; [unrolled: 2-line block ×3, first 2 shown]
	v_add_nc_u32_e32 v20, 0xffffff88, v13
	v_mad_u64_u32 v[12:13], null, 0xfc2757d1, v22, v[15:16]
	v_cmp_lt_u32_e32 vcc_lo, 63, v20
	v_cndmask_b32_e64 v21, 0, 0xffffffc0, vcc_lo
	v_mov_b32_e32 v15, v13
	v_cndmask_b32_e32 v17, v19, v17, vcc_lo
	v_cndmask_b32_e32 v14, v18, v14, vcc_lo
	v_add_nc_u32_e32 v13, v21, v20
	v_mad_u64_u32 v[20:21], null, 0x4e441529, v22, v[15:16]
	v_cmp_lt_u32_e64 s0, 31, v13
	v_mov_b32_e32 v15, v21
	v_cndmask_b32_e64 v23, 0, 0xffffffe0, s0
	v_cndmask_b32_e64 v14, v17, v14, s0
	v_mad_u64_u32 v[15:16], null, 0xa2f9836e, v22, v[15:16]
	v_add_nc_u32_e32 v13, v23, v13
	v_cndmask_b32_e32 v22, v20, v19, vcc_lo
	v_cmp_lt_u32_e64 s1, 31, v13
	v_cndmask_b32_e32 v15, v15, v12, vcc_lo
	v_cndmask_b32_e32 v16, v16, v20, vcc_lo
	;; [unrolled: 1-line block ×3, first 2 shown]
	v_cndmask_b32_e64 v21, 0, 0xffffffe0, s1
	v_cndmask_b32_e64 v19, v15, v22, s0
	;; [unrolled: 1-line block ×5, first 2 shown]
	v_add_nc_u32_e32 v13, v21, v13
	v_cndmask_b32_e64 v15, v15, v19, s1
	v_cndmask_b32_e64 v19, v19, v16, s1
	;; [unrolled: 1-line block ×3, first 2 shown]
	v_sub_nc_u32_e32 v20, 32, v13
	v_cmp_eq_u32_e32 vcc_lo, 0, v13
	v_cndmask_b32_e64 v12, v12, v14, s1
	v_alignbit_b32 v21, v15, v19, v20
	v_alignbit_b32 v18, v19, v16, v20
	v_cndmask_b32_e32 v13, v21, v15, vcc_lo
	v_cndmask_b32_e32 v15, v18, v19, vcc_lo
	v_alignbit_b32 v19, v16, v12, v20
	v_bfe_u32 v17, v13, 29, 1
	v_alignbit_b32 v14, v13, v15, 30
	v_cndmask_b32_e32 v16, v19, v16, vcc_lo
	v_sub_nc_u32_e32 v18, 0, v17
	v_alignbit_b32 v15, v15, v16, 30
	v_alignbit_b32 v12, v16, v12, 30
	v_xor_b32_e32 v14, v14, v18
	v_xor_b32_e32 v15, v15, v18
	;; [unrolled: 1-line block ×3, first 2 shown]
	v_lshrrev_b32_e32 v18, 29, v13
	v_ffbh_u32_e32 v19, v14
	v_lshrrev_b32_e32 v13, 30, v13
	v_min_u32_e32 v19, 32, v19
	v_sub_nc_u32_e32 v16, 31, v19
	v_lshlrev_b32_e32 v20, 23, v19
	v_alignbit_b32 v14, v14, v15, v16
	v_alignbit_b32 v12, v15, v12, v16
	v_lshlrev_b32_e32 v15, 31, v18
	v_alignbit_b32 v16, v14, v12, 9
	v_or_b32_e32 v18, 0.5, v15
	v_lshrrev_b32_e32 v14, 9, v14
	v_or_b32_e32 v15, 0x33000000, v15
	v_ffbh_u32_e32 v21, v16
	v_sub_nc_u32_e32 v18, v18, v20
	v_min_u32_e32 v20, 32, v21
	v_or_b32_e32 v14, v14, v18
	v_not_b32_e32 v18, v20
	v_mul_f32_e32 v21, 0x3fc90fda, v14
	v_add_lshl_u32 v19, v20, v19, 23
	v_alignbit_b32 v12, v16, v12, v18
	v_fma_f32 v16, 0x3fc90fda, v14, -v21
	v_sub_nc_u32_e32 v15, v15, v19
	v_lshrrev_b32_e32 v12, 9, v12
	v_fmamk_f32 v14, v14, 0x33a22168, v16
	v_or_b32_e32 v12, v15, v12
                                        ; implicit-def: $vgpr15
	v_fmac_f32_e32 v14, 0x3fc90fda, v12
	v_add_f32_e32 v12, v21, v14
	v_add_nc_u32_e32 v14, v17, v13
	s_andn2_saveexec_b32 s0, s2
	s_cbranch_execnz .LBB19_86
	s_branch .LBB19_87
.LBB19_85:
	s_andn2_saveexec_b32 s0, s2
.LBB19_86:
	v_rndne_f32_e32 v13, v15
	v_fma_f32 v12, 0xbfc90fda, v13, |v4|
	v_cvt_i32_f32_e32 v14, v13
	v_fmamk_f32 v12, v13, 0xb3a22168, v12
	v_fmamk_f32 v12, v13, 0xa7c234c4, v12
.LBB19_87:
	s_or_b32 exec_lo, exec_lo, s0
	v_div_scale_f32 v13, null, v6, v6, 0x40a00000
	v_div_scale_f32 v17, vcc_lo, 0x40a00000, v6, 0x40a00000
	s_mov_b32 s0, 0xb94c1982
	v_rcp_f32_e32 v15, v13
	v_mul_f32_e32 v24, 0x4f800000, v6
	s_mov_b32 s1, 0x37d75334
	v_and_b32_e32 v19, 1, v14
	v_xor_b32_e32 v8, v8, v4
	v_lshlrev_b32_e32 v14, 30, v14
	v_and_b32_e32 v14, 0x80000000, v14
	v_fma_f32 v16, -v13, v15, 1.0
	v_fmac_f32_e32 v15, v16, v15
	v_mul_f32_e32 v16, v17, v15
	v_fma_f32 v18, -v13, v16, v17
	v_fmac_f32_e32 v16, v18, v15
	v_mul_f32_e32 v18, v12, v12
	v_fma_f32 v13, -v13, v16, v17
	v_fmaak_f32 v27, s0, v18, 0x3c0881c4
	v_fmaak_f32 v28, s1, v18, 0xbab64f3b
	v_div_fmas_f32 v13, v13, v15, v16
	v_mul_f32_e32 v15, v10, v10
	v_fmaak_f32 v28, v18, v28, 0x3d2aabf7
	v_and_b32_e32 v16, 1, v11
	v_fmaak_f32 v27, v18, v27, 0xbe2aaa9d
	v_div_fixup_f32 v13, v13, v6, 0x40a00000
	v_fmaak_f32 v25, s0, v15, 0x3c0881c4
	v_cmp_gt_f32_e64 s0, 0xf800000, v6
	v_fmaak_f32 v26, s1, v15, 0xbab64f3b
	v_fmaak_f32 v28, v18, v28, 0xbf000004
	v_mul_f32_e32 v17, v13, v13
	v_fmaak_f32 v25, v15, v25, 0xbe2aaa9d
	v_cndmask_b32_e64 v6, v6, v24, s0
	v_fmaak_f32 v26, v15, v26, 0x3d2aabf7
	v_mul_f32_e32 v27, v18, v27
	v_fmaak_f32 v20, 0, v17, 0x3d513fd3
	v_fmaak_f32 v21, 0, v17, 0x3a15c4d9
	;; [unrolled: 1-line block ×4, first 2 shown]
	v_mul_f32_e32 v25, v15, v25
	v_fmaak_f32 v20, v17, v20, 0x409f6dae
	v_fmaak_f32 v21, v17, v21, 0x3d8cfeeb
	;; [unrolled: 1-line block ×9, first 2 shown]
	v_fmac_f32_e32 v10, v10, v25
	v_fmaak_f32 v20, v17, v20, 0x43b763ca
	v_fmaak_f32 v21, v17, v21, 0x40a25d18
	;; [unrolled: 1-line block ×4, first 2 shown]
	v_sqrt_f32_e32 v31, v6
	v_fmaak_f32 v20, v17, v20, 0x4431b6ce
	v_fmaak_f32 v21, v17, v21, 0x410665cf
	;; [unrolled: 1-line block ×4, first 2 shown]
	v_fma_f32 v15, v15, v26, 1.0
	v_fmaak_f32 v20, v17, v20, 0x44155f56
	v_fmaak_f32 v21, v17, v21, 0x40a6b6ea
	;; [unrolled: 1-line block ×4, first 2 shown]
	v_fma_f32 v18, v18, v28, 1.0
	v_fmaak_f32 v20, v17, v20, 0x4353b052
	v_fma_f32 v21, v17, v21, 1.0
	v_fma_f32 v22, v17, v22, 1.0
	v_fmaak_f32 v23, v17, v23, 0x43a80bfb
	v_cmp_eq_u32_e64 s2, 0, v16
	v_fmaak_f32 v17, v17, v20, 0x41c9a7fa
	v_lshlrev_b32_e32 v11, 30, v11
	v_div_scale_f32 v20, null, v21, v21, v22
	v_div_scale_f32 v34, vcc_lo, v22, v21, v22
	v_div_scale_f32 v29, null, v23, v23, v17
	v_rcp_f32_e32 v24, v20
	v_fmac_f32_e32 v12, v12, v27
	v_cndmask_b32_e64 v10, v15, v10, s2
	v_rcp_f32_e32 v30, v29
	v_cmp_eq_u32_e64 s2, 0, v19
	v_and_b32_e32 v11, 0x80000000, v11
	v_add_nc_u32_e32 v27, -1, v31
	v_cndmask_b32_e64 v12, -v12, v18, s2
	v_fma_f32 v32, -v20, v24, 1.0
	v_fma_f32 v15, -v27, v31, v6
	v_xor3_b32 v8, v8, v11, v10
	v_fma_f32 v33, -v29, v30, 1.0
	v_xor_b32_e32 v12, v14, v12
	v_fmac_f32_e32 v24, v32, v24
	v_div_scale_f32 v32, s1, v17, v23, v17
	v_fmac_f32_e32 v30, v33, v30
	v_add_nc_u32_e32 v33, 1, v31
	v_mul_f32_e32 v25, v34, v24
	v_mul_f32_e32 v26, v32, v30
	v_fma_f32 v16, -v33, v31, v6
	v_fma_f32 v28, -v20, v25, v34
	;; [unrolled: 1-line block ×3, first 2 shown]
	v_fmac_f32_e32 v25, v28, v24
	v_fmac_f32_e32 v26, v35, v30
	v_fma_f32 v18, -v20, v25, v34
	v_fma_f32 v10, -v29, v26, v32
	v_div_fmas_f32 v11, v18, v24, v25
	s_mov_b32 vcc_lo, s1
	v_cmp_ge_f32_e64 s1, 0, v15
	v_div_fmas_f32 v10, v10, v30, v26
	v_cmp_class_f32_e64 vcc_lo, v4, 0x1f8
	v_div_fixup_f32 v11, v11, v21, v22
	v_cndmask_b32_e64 v4, v31, v27, s1
	v_div_fixup_f32 v10, v10, v23, v17
	v_cmp_lt_f32_e64 s1, 0, v16
	v_cndmask_b32_e32 v12, 0x7fc00000, v12, vcc_lo
	v_cndmask_b32_e32 v8, 0x7fc00000, v8, vcc_lo
	v_cmp_class_f32_e64 vcc_lo, v6, 0x260
	v_mul_f32_e32 v10, v13, v10
	v_cndmask_b32_e64 v4, v4, v33, s1
	v_mul_f32_e32 v10, v10, v12
	v_mul_f32_e32 v13, 0x37800000, v4
	v_fmac_f32_e32 v10, v11, v8
	v_cndmask_b32_e64 v4, v4, v13, s0
	v_cndmask_b32_e32 v4, v4, v6, vcc_lo
	v_mul_f32_e32 v6, 0x3f4c422a, v10
	v_div_scale_f32 v8, null, v4, v4, v6
	v_rcp_f32_e32 v10, v8
	v_fma_f32 v11, -v8, v10, 1.0
	v_fmac_f32_e32 v10, v11, v10
	v_div_scale_f32 v11, vcc_lo, v6, v4, v6
	v_mul_f32_e32 v12, v11, v10
	v_fma_f32 v13, -v8, v12, v11
	v_fmac_f32_e32 v12, v13, v10
	v_fma_f32 v8, -v8, v12, v11
	v_div_fmas_f32 v8, v8, v10, v12
	v_div_fixup_f32 v4, v8, v4, v6
.LBB19_88:
	s_or_b32 exec_lo, exec_lo, s3
	global_load_dword v8, v9, s[6:7]
                                        ; implicit-def: $vgpr6
	s_mov_b32 s0, exec_lo
	s_waitcnt vmcnt(0)
	v_cmpx_ge_f32_e32 0x40a00000, v8
	s_xor_b32 s3, exec_lo, s0
	s_cbranch_execz .LBB19_94
; %bb.89:
	v_mov_b32_e32 v6, 0xff800000
	s_mov_b32 s8, exec_lo
	v_cmpx_neq_f32_e32 0, v8
	s_cbranch_execz .LBB19_93
; %bb.90:
	v_mov_b32_e32 v6, 0x7fc00000
	s_mov_b32 s9, exec_lo
	v_cmpx_nge_f32_e32 0, v8
	s_cbranch_execz .LBB19_92
; %bb.91:
	v_mul_f32_e32 v6, v8, v8
	v_cmp_gt_f32_e64 s0, 0x800000, v8
	v_div_scale_f32 v17, null, v8, v8, -1.0
	v_div_scale_f32 v26, s2, -1.0, v8, -1.0
	v_fmaak_f32 v9, 0, v6, 0x4414934d
	v_fmaak_f32 v10, 0, v6, 0x441b3589
	;; [unrolled: 1-line block ×4, first 2 shown]
	v_cndmask_b32_e64 v16, 0, 32, s0
	v_fmaak_f32 v9, v6, v9, 0x48660b06
	v_fmaak_f32 v10, v6, v10, 0x487af6d0
	;; [unrolled: 1-line block ×4, first 2 shown]
	v_rcp_f32_e32 v18, v17
	v_fmaak_f32 v9, v6, v9, 0x4c8c277d
	v_fmaak_f32 v10, v6, v10, 0x4c9f4aa7
	;; [unrolled: 1-line block ×4, first 2 shown]
	v_ldexp_f32 v16, v8, v16
	v_fmaak_f32 v9, v6, v9, 0x508bc61d
	v_fmaak_f32 v10, v6, v10, 0x50a509fc
	;; [unrolled: 1-line block ×4, first 2 shown]
	v_log_f32_e32 v16, v16
	v_fmaak_f32 v9, v6, v9, 0x5461faf8
	v_fmaak_f32 v10, v6, v10, 0x548a37dc
	;; [unrolled: 1-line block ×3, first 2 shown]
	v_fma_f32 v23, -v17, v18, 1.0
	v_fmaak_f32 v9, v6, v9, 0x580d1937
	v_fmaak_f32 v10, v6, v10, 0x58325852
	;; [unrolled: 1-line block ×3, first 2 shown]
	v_fmac_f32_e32 v18, v23, v18
	v_mul_f32_e32 v27, 0x3f317217, v16
	v_fmaak_f32 v9, v6, v9, 0x5b741f1e
	v_fmaak_f32 v10, v6, v10, 0x5b9f0600
	v_fma_f32 v23, 0x3f317217, v16, -v27
	v_fmaak_f32 v9, v6, v9, 0x5e5c878d
	v_fmaak_f32 v6, v6, v10, 0x5e93bcac
	v_div_scale_f32 v10, null, v9, v9, v11
	v_div_scale_f32 v13, null, v6, v6, v12
	v_div_scale_f32 v21, vcc_lo, v11, v9, v11
	v_rcp_f32_e32 v14, v10
	v_rcp_f32_e32 v15, v13
	v_div_scale_f32 v22, s1, v12, v6, v12
	v_fma_f32 v19, -v10, v14, 1.0
	v_fma_f32 v20, -v13, v15, 1.0
	v_fmac_f32_e32 v14, v19, v14
	v_fmac_f32_e32 v15, v20, v15
	v_mul_f32_e32 v19, v21, v14
	v_mul_f32_e32 v20, v22, v15
	v_fma_f32 v24, -v10, v19, v21
	v_fma_f32 v25, -v13, v20, v22
	v_fmac_f32_e32 v19, v24, v14
	v_fmac_f32_e32 v20, v25, v15
	v_fma_f32 v10, -v10, v19, v21
	v_mul_f32_e32 v21, v26, v18
	v_fma_f32 v13, -v13, v20, v22
	v_div_fmas_f32 v10, v10, v14, v19
	s_mov_b32 vcc_lo, s1
	v_fma_f32 v14, -v17, v21, v26
	v_div_fmas_f32 v13, v13, v15, v20
	v_fmamk_f32 v15, v16, 0x3377d1cf, v23
	v_cmp_gt_f32_e64 vcc_lo, 0x7f800000, |v16|
	v_div_fixup_f32 v9, v10, v9, v11
	v_fmac_f32_e32 v21, v14, v18
	v_div_fixup_f32 v6, v13, v6, v12
	v_fmac_f32_e32 v15, 0x3f317217, v16
	v_fmaak_f32 v12, v8, v8, 0xc16ae95a
	v_fmaak_f32 v13, v8, v8, 0xc244dfb3
	v_fma_f32 v17, -v17, v21, v26
	v_mul_f32_e32 v6, v8, v6
	v_cndmask_b32_e32 v15, v16, v15, vcc_lo
	s_mov_b32 vcc_lo, s2
	v_cndmask_b32_e64 v14, 0, 0x41b17218, s0
	v_mul_f32_e32 v6, v12, v6
	v_div_fmas_f32 v12, v17, v18, v21
	v_sub_f32_e32 v14, v15, v14
	v_mul_f32_e32 v6, v13, v6
	v_div_fixup_f32 v12, v12, v8, -1.0
	v_fmac_f32_e32 v12, v14, v6
	v_mul_f32_e32 v6, 0x3f22f983, v12
	v_fmac_f32_e32 v6, v8, v9
.LBB19_92:
	s_or_b32 exec_lo, exec_lo, s9
.LBB19_93:
	s_or_b32 exec_lo, exec_lo, s8
                                        ; implicit-def: $vgpr8
.LBB19_94:
	s_andn2_saveexec_b32 s3, s3
	s_cbranch_execz .LBB19_104
; %bb.95:
	v_add_f32_e32 v6, 0xc016cbe4, v8
                                        ; implicit-def: $vgpr11
                                        ; implicit-def: $vgpr10
	v_and_b32_e32 v9, 0x7fffffff, v6
	v_cmp_ngt_f32_e64 s2, 0x48000000, |v6|
	v_lshrrev_b32_e32 v13, 23, v9
	s_and_saveexec_b32 s0, s2
	s_xor_b32 s8, exec_lo, s0
	s_cbranch_execz .LBB19_97
; %bb.96:
	s_mov_b32 s0, 0x7fffff
	v_mov_b32_e32 v12, 0
	v_and_or_b32 v20, v9, s0, 0x800000
	v_add_nc_u32_e32 v19, 0xffffff88, v13
	v_mad_u64_u32 v[10:11], null, 0xfe5163ab, v20, 0
	v_cmp_lt_u32_e32 vcc_lo, 63, v19
	v_cndmask_b32_e64 v21, 0, 0xffffffc0, vcc_lo
	v_mad_u64_u32 v[14:15], null, 0x3c439041, v20, v[11:12]
	v_add_nc_u32_e32 v21, v21, v19
	v_mov_b32_e32 v11, v15
	v_cmp_lt_u32_e64 s0, 31, v21
	v_mad_u64_u32 v[15:16], null, 0xdb629599, v20, v[11:12]
	v_cndmask_b32_e64 v22, 0, 0xffffffe0, s0
	v_mov_b32_e32 v11, v16
	v_cndmask_b32_e32 v10, v15, v10, vcc_lo
	v_mad_u64_u32 v[16:17], null, 0xf534ddc0, v20, v[11:12]
	v_mov_b32_e32 v11, v17
	v_cndmask_b32_e32 v14, v16, v14, vcc_lo
	v_mad_u64_u32 v[17:18], null, 0xfc2757d1, v20, v[11:12]
	v_cndmask_b32_e64 v10, v14, v10, s0
	v_mov_b32_e32 v11, v18
	v_mad_u64_u32 v[18:19], null, 0x4e441529, v20, v[11:12]
	v_mov_b32_e32 v11, v19
	v_add_nc_u32_e32 v19, v22, v21
	v_cndmask_b32_e32 v21, v18, v16, vcc_lo
	v_mad_u64_u32 v[11:12], null, 0xa2f9836e, v20, v[11:12]
	v_cmp_lt_u32_e64 s1, 31, v19
	v_cndmask_b32_e64 v20, 0, 0xffffffe0, s1
	v_cndmask_b32_e32 v11, v11, v17, vcc_lo
	v_cndmask_b32_e32 v12, v12, v18, vcc_lo
	;; [unrolled: 1-line block ×3, first 2 shown]
	v_add_nc_u32_e32 v18, v20, v19
	v_cndmask_b32_e64 v16, v11, v21, s0
	v_cndmask_b32_e64 v11, v12, v11, s0
	;; [unrolled: 1-line block ×4, first 2 shown]
	v_sub_nc_u32_e32 v19, 32, v18
	v_cmp_eq_u32_e32 vcc_lo, 0, v18
	v_cndmask_b32_e64 v11, v11, v16, s1
	v_cndmask_b32_e64 v16, v16, v12, s1
	;; [unrolled: 1-line block ×4, first 2 shown]
	v_alignbit_b32 v20, v11, v16, v19
	v_alignbit_b32 v15, v16, v12, v19
	;; [unrolled: 1-line block ×3, first 2 shown]
	v_cndmask_b32_e32 v11, v20, v11, vcc_lo
	v_cndmask_b32_e32 v14, v15, v16, vcc_lo
	v_cndmask_b32_e32 v12, v18, v12, vcc_lo
	v_bfe_u32 v15, v11, 29, 1
	v_alignbit_b32 v16, v11, v14, 30
	v_alignbit_b32 v14, v14, v12, 30
	;; [unrolled: 1-line block ×3, first 2 shown]
	v_sub_nc_u32_e32 v17, 0, v15
	v_xor_b32_e32 v16, v16, v17
	v_xor_b32_e32 v12, v14, v17
	v_xor_b32_e32 v10, v10, v17
	v_lshrrev_b32_e32 v17, 29, v11
	v_lshrrev_b32_e32 v11, 30, v11
	v_ffbh_u32_e32 v18, v16
	v_add_nc_u32_e32 v11, v15, v11
	v_min_u32_e32 v18, 32, v18
	v_sub_nc_u32_e32 v14, 31, v18
	v_lshlrev_b32_e32 v19, 23, v18
	v_alignbit_b32 v16, v16, v12, v14
	v_alignbit_b32 v10, v12, v10, v14
	v_lshlrev_b32_e32 v12, 31, v17
	v_alignbit_b32 v14, v16, v10, 9
	v_or_b32_e32 v17, 0.5, v12
	v_lshrrev_b32_e32 v16, 9, v16
	v_or_b32_e32 v12, 0x33000000, v12
	v_ffbh_u32_e32 v20, v14
	v_sub_nc_u32_e32 v17, v17, v19
	v_min_u32_e32 v19, 32, v20
	v_or_b32_e32 v16, v16, v17
	v_not_b32_e32 v17, v19
	v_mul_f32_e32 v20, 0x3fc90fda, v16
	v_add_lshl_u32 v18, v19, v18, 23
	v_alignbit_b32 v10, v14, v10, v17
	v_fma_f32 v14, 0x3fc90fda, v16, -v20
	v_sub_nc_u32_e32 v12, v12, v18
	v_lshrrev_b32_e32 v10, 9, v10
	v_fmamk_f32 v14, v16, 0x33a22168, v14
	v_or_b32_e32 v10, v12, v10
	v_fmac_f32_e32 v14, 0x3fc90fda, v10
	v_add_f32_e32 v10, v20, v14
	s_or_saveexec_b32 s0, s8
	v_mul_f32_e64 v15, 0x3f22f983, |v6|
	s_xor_b32 exec_lo, exec_lo, s0
	s_branch .LBB19_98
.LBB19_97:
	s_or_saveexec_b32 s0, s8
	v_mul_f32_e64 v15, 0x3f22f983, |v6|
	s_xor_b32 exec_lo, exec_lo, s0
.LBB19_98:
	v_rndne_f32_e32 v11, v15
	v_fma_f32 v10, 0xbfc90fda, v11, |v6|
	v_fmamk_f32 v10, v11, 0xb3a22168, v10
	v_fmamk_f32 v10, v11, 0xa7c234c4, v10
	v_cvt_i32_f32_e32 v11, v11
; %bb.99:
	s_or_b32 exec_lo, exec_lo, s0
                                        ; implicit-def: $vgpr14
                                        ; implicit-def: $vgpr12
	s_and_saveexec_b32 s0, s2
	s_xor_b32 s2, exec_lo, s0
	s_cbranch_execz .LBB19_101
; %bb.100:
	s_mov_b32 s0, 0x7fffff
	v_mov_b32_e32 v16, 0
	v_and_or_b32 v22, v9, s0, 0x800000
	v_mad_u64_u32 v[14:15], null, 0xfe5163ab, v22, 0
	v_mad_u64_u32 v[17:18], null, 0x3c439041, v22, v[15:16]
	v_mov_b32_e32 v15, v18
	v_mad_u64_u32 v[18:19], null, 0xdb629599, v22, v[15:16]
	v_mov_b32_e32 v15, v19
	;; [unrolled: 2-line block ×3, first 2 shown]
	v_add_nc_u32_e32 v20, 0xffffff88, v13
	v_mad_u64_u32 v[12:13], null, 0xfc2757d1, v22, v[15:16]
	v_cmp_lt_u32_e32 vcc_lo, 63, v20
	v_cndmask_b32_e64 v21, 0, 0xffffffc0, vcc_lo
	v_mov_b32_e32 v15, v13
	v_cndmask_b32_e32 v17, v19, v17, vcc_lo
	v_cndmask_b32_e32 v14, v18, v14, vcc_lo
	v_add_nc_u32_e32 v13, v21, v20
	v_mad_u64_u32 v[20:21], null, 0x4e441529, v22, v[15:16]
	v_cmp_lt_u32_e64 s0, 31, v13
	v_mov_b32_e32 v15, v21
	v_cndmask_b32_e64 v23, 0, 0xffffffe0, s0
	v_cndmask_b32_e64 v14, v17, v14, s0
	v_mad_u64_u32 v[15:16], null, 0xa2f9836e, v22, v[15:16]
	v_add_nc_u32_e32 v13, v23, v13
	v_cndmask_b32_e32 v22, v20, v19, vcc_lo
	v_cmp_lt_u32_e64 s1, 31, v13
	v_cndmask_b32_e32 v15, v15, v12, vcc_lo
	v_cndmask_b32_e32 v16, v16, v20, vcc_lo
	;; [unrolled: 1-line block ×3, first 2 shown]
	v_cndmask_b32_e64 v21, 0, 0xffffffe0, s1
	v_cndmask_b32_e64 v19, v15, v22, s0
	;; [unrolled: 1-line block ×5, first 2 shown]
	v_add_nc_u32_e32 v13, v21, v13
	v_cndmask_b32_e64 v15, v15, v19, s1
	v_cndmask_b32_e64 v19, v19, v16, s1
	;; [unrolled: 1-line block ×3, first 2 shown]
	v_sub_nc_u32_e32 v20, 32, v13
	v_cmp_eq_u32_e32 vcc_lo, 0, v13
	v_cndmask_b32_e64 v12, v12, v14, s1
	v_alignbit_b32 v21, v15, v19, v20
	v_alignbit_b32 v18, v19, v16, v20
	v_cndmask_b32_e32 v13, v21, v15, vcc_lo
	v_cndmask_b32_e32 v15, v18, v19, vcc_lo
	v_alignbit_b32 v19, v16, v12, v20
	v_bfe_u32 v17, v13, 29, 1
	v_alignbit_b32 v14, v13, v15, 30
	v_cndmask_b32_e32 v16, v19, v16, vcc_lo
	v_sub_nc_u32_e32 v18, 0, v17
	v_alignbit_b32 v15, v15, v16, 30
	v_alignbit_b32 v12, v16, v12, 30
	v_xor_b32_e32 v14, v14, v18
	v_xor_b32_e32 v15, v15, v18
	v_xor_b32_e32 v12, v12, v18
	v_lshrrev_b32_e32 v18, 29, v13
	v_ffbh_u32_e32 v19, v14
	v_lshrrev_b32_e32 v13, 30, v13
	v_min_u32_e32 v19, 32, v19
	v_sub_nc_u32_e32 v16, 31, v19
	v_lshlrev_b32_e32 v20, 23, v19
	v_alignbit_b32 v14, v14, v15, v16
	v_alignbit_b32 v12, v15, v12, v16
	v_lshlrev_b32_e32 v15, 31, v18
	v_alignbit_b32 v16, v14, v12, 9
	v_or_b32_e32 v18, 0.5, v15
	v_lshrrev_b32_e32 v14, 9, v14
	v_or_b32_e32 v15, 0x33000000, v15
	v_ffbh_u32_e32 v21, v16
	v_sub_nc_u32_e32 v18, v18, v20
	v_min_u32_e32 v20, 32, v21
	v_or_b32_e32 v14, v14, v18
	v_not_b32_e32 v18, v20
	v_mul_f32_e32 v21, 0x3fc90fda, v14
	v_add_lshl_u32 v19, v20, v19, 23
	v_alignbit_b32 v12, v16, v12, v18
	v_fma_f32 v16, 0x3fc90fda, v14, -v21
	v_sub_nc_u32_e32 v15, v15, v19
	v_lshrrev_b32_e32 v12, 9, v12
	v_fmamk_f32 v14, v14, 0x33a22168, v16
	v_or_b32_e32 v12, v15, v12
                                        ; implicit-def: $vgpr15
	v_fmac_f32_e32 v14, 0x3fc90fda, v12
	v_add_f32_e32 v12, v21, v14
	v_add_nc_u32_e32 v14, v17, v13
	s_andn2_saveexec_b32 s0, s2
	s_cbranch_execnz .LBB19_102
	s_branch .LBB19_103
.LBB19_101:
	s_andn2_saveexec_b32 s0, s2
.LBB19_102:
	v_rndne_f32_e32 v13, v15
	v_fma_f32 v12, 0xbfc90fda, v13, |v6|
	v_cvt_i32_f32_e32 v14, v13
	v_fmamk_f32 v12, v13, 0xb3a22168, v12
	v_fmamk_f32 v12, v13, 0xa7c234c4, v12
.LBB19_103:
	s_or_b32 exec_lo, exec_lo, s0
	v_div_scale_f32 v13, null, v8, v8, 0x40a00000
	v_div_scale_f32 v17, vcc_lo, 0x40a00000, v8, 0x40a00000
	s_mov_b32 s0, 0xb94c1982
	v_rcp_f32_e32 v15, v13
	v_mul_f32_e32 v24, 0x4f800000, v8
	s_mov_b32 s1, 0x37d75334
	v_and_b32_e32 v19, 1, v14
	v_xor_b32_e32 v9, v9, v6
	v_lshlrev_b32_e32 v14, 30, v14
	v_and_b32_e32 v14, 0x80000000, v14
	v_fma_f32 v16, -v13, v15, 1.0
	v_fmac_f32_e32 v15, v16, v15
	v_mul_f32_e32 v16, v17, v15
	v_fma_f32 v18, -v13, v16, v17
	v_fmac_f32_e32 v16, v18, v15
	v_mul_f32_e32 v18, v12, v12
	v_fma_f32 v13, -v13, v16, v17
	v_fmaak_f32 v27, s0, v18, 0x3c0881c4
	v_fmaak_f32 v28, s1, v18, 0xbab64f3b
	v_div_fmas_f32 v13, v13, v15, v16
	v_mul_f32_e32 v15, v10, v10
	v_fmaak_f32 v28, v18, v28, 0x3d2aabf7
	v_and_b32_e32 v16, 1, v11
	v_fmaak_f32 v27, v18, v27, 0xbe2aaa9d
	v_div_fixup_f32 v13, v13, v8, 0x40a00000
	v_fmaak_f32 v25, s0, v15, 0x3c0881c4
	v_cmp_gt_f32_e64 s0, 0xf800000, v8
	v_fmaak_f32 v26, s1, v15, 0xbab64f3b
	v_fmaak_f32 v28, v18, v28, 0xbf000004
	v_mul_f32_e32 v17, v13, v13
	v_fmaak_f32 v25, v15, v25, 0xbe2aaa9d
	v_cndmask_b32_e64 v8, v8, v24, s0
	v_fmaak_f32 v26, v15, v26, 0x3d2aabf7
	v_mul_f32_e32 v27, v18, v27
	v_fmaak_f32 v20, 0, v17, 0x3d513fd3
	v_fmaak_f32 v21, 0, v17, 0x3a15c4d9
	;; [unrolled: 1-line block ×4, first 2 shown]
	v_mul_f32_e32 v25, v15, v25
	v_fmaak_f32 v20, v17, v20, 0x409f6dae
	v_fmaak_f32 v21, v17, v21, 0x3d8cfeeb
	;; [unrolled: 1-line block ×9, first 2 shown]
	v_fmac_f32_e32 v10, v10, v25
	v_fmaak_f32 v20, v17, v20, 0x43b763ca
	v_fmaak_f32 v21, v17, v21, 0x40a25d18
	;; [unrolled: 1-line block ×4, first 2 shown]
	v_sqrt_f32_e32 v31, v8
	v_fmaak_f32 v20, v17, v20, 0x4431b6ce
	v_fmaak_f32 v21, v17, v21, 0x410665cf
	;; [unrolled: 1-line block ×4, first 2 shown]
	v_fma_f32 v15, v15, v26, 1.0
	v_fmaak_f32 v20, v17, v20, 0x44155f56
	v_fmaak_f32 v21, v17, v21, 0x40a6b6ea
	;; [unrolled: 1-line block ×4, first 2 shown]
	v_fma_f32 v18, v18, v28, 1.0
	v_fmaak_f32 v20, v17, v20, 0x4353b052
	v_fma_f32 v21, v17, v21, 1.0
	v_fma_f32 v22, v17, v22, 1.0
	v_fmaak_f32 v23, v17, v23, 0x43a80bfb
	v_cmp_eq_u32_e64 s2, 0, v16
	v_fmaak_f32 v17, v17, v20, 0x41c9a7fa
	v_lshlrev_b32_e32 v11, 30, v11
	v_div_scale_f32 v20, null, v21, v21, v22
	v_div_scale_f32 v34, vcc_lo, v22, v21, v22
	v_div_scale_f32 v29, null, v23, v23, v17
	v_rcp_f32_e32 v24, v20
	v_fmac_f32_e32 v12, v12, v27
	v_cndmask_b32_e64 v10, v15, v10, s2
	v_rcp_f32_e32 v30, v29
	v_cmp_eq_u32_e64 s2, 0, v19
	v_and_b32_e32 v11, 0x80000000, v11
	v_add_nc_u32_e32 v27, -1, v31
	v_cndmask_b32_e64 v12, -v12, v18, s2
	v_fma_f32 v32, -v20, v24, 1.0
	v_fma_f32 v15, -v27, v31, v8
	v_xor3_b32 v9, v9, v11, v10
	v_fma_f32 v33, -v29, v30, 1.0
	v_xor_b32_e32 v12, v14, v12
	v_fmac_f32_e32 v24, v32, v24
	v_div_scale_f32 v32, s1, v17, v23, v17
	v_fmac_f32_e32 v30, v33, v30
	v_add_nc_u32_e32 v33, 1, v31
	v_mul_f32_e32 v25, v34, v24
	v_mul_f32_e32 v26, v32, v30
	v_fma_f32 v16, -v33, v31, v8
	v_fma_f32 v28, -v20, v25, v34
	;; [unrolled: 1-line block ×3, first 2 shown]
	v_fmac_f32_e32 v25, v28, v24
	v_fmac_f32_e32 v26, v35, v30
	v_fma_f32 v18, -v20, v25, v34
	v_fma_f32 v10, -v29, v26, v32
	v_div_fmas_f32 v11, v18, v24, v25
	s_mov_b32 vcc_lo, s1
	v_cmp_ge_f32_e64 s1, 0, v15
	v_div_fmas_f32 v10, v10, v30, v26
	v_cmp_class_f32_e64 vcc_lo, v6, 0x1f8
	v_div_fixup_f32 v11, v11, v21, v22
	v_cndmask_b32_e64 v6, v31, v27, s1
	v_div_fixup_f32 v10, v10, v23, v17
	v_cmp_lt_f32_e64 s1, 0, v16
	v_cndmask_b32_e32 v12, 0x7fc00000, v12, vcc_lo
	v_cndmask_b32_e32 v9, 0x7fc00000, v9, vcc_lo
	v_cmp_class_f32_e64 vcc_lo, v8, 0x260
	v_mul_f32_e32 v10, v13, v10
	v_cndmask_b32_e64 v6, v6, v33, s1
	v_mul_f32_e32 v10, v10, v12
	v_mul_f32_e32 v13, 0x37800000, v6
	v_fmac_f32_e32 v10, v11, v9
	v_cndmask_b32_e64 v6, v6, v13, s0
	v_cndmask_b32_e32 v6, v6, v8, vcc_lo
	v_mul_f32_e32 v8, 0x3f4c422a, v10
	v_div_scale_f32 v9, null, v6, v6, v8
	v_rcp_f32_e32 v10, v9
	v_fma_f32 v11, -v9, v10, 1.0
	v_fmac_f32_e32 v10, v11, v10
	v_div_scale_f32 v11, vcc_lo, v8, v6, v8
	v_mul_f32_e32 v12, v11, v10
	v_fma_f32 v13, -v9, v12, v11
	v_fmac_f32_e32 v12, v13, v10
	v_fma_f32 v9, -v9, v12, v11
	v_div_fmas_f32 v9, v9, v10, v12
	v_div_fixup_f32 v6, v9, v6, v8
.LBB19_104:
	s_or_b32 exec_lo, exec_lo, s3
	global_load_dword v8, v7, s[6:7]
                                        ; implicit-def: $vgpr7
	s_mov_b32 s0, exec_lo
	s_waitcnt vmcnt(0)
	v_cmpx_ge_f32_e32 0x40a00000, v8
	s_xor_b32 s3, exec_lo, s0
	s_cbranch_execz .LBB19_110
; %bb.105:
	v_mov_b32_e32 v7, 0xff800000
	s_mov_b32 s8, exec_lo
	v_cmpx_neq_f32_e32 0, v8
	s_cbranch_execz .LBB19_109
; %bb.106:
	v_mov_b32_e32 v7, 0x7fc00000
	s_mov_b32 s9, exec_lo
	v_cmpx_nge_f32_e32 0, v8
	s_cbranch_execz .LBB19_108
; %bb.107:
	v_mul_f32_e32 v7, v8, v8
	v_cmp_gt_f32_e64 s0, 0x800000, v8
	v_div_scale_f32 v17, null, v8, v8, -1.0
	v_div_scale_f32 v26, s2, -1.0, v8, -1.0
	v_fmaak_f32 v9, 0, v7, 0x4414934d
	v_fmaak_f32 v10, 0, v7, 0x441b3589
	;; [unrolled: 1-line block ×4, first 2 shown]
	v_cndmask_b32_e64 v16, 0, 32, s0
	v_fmaak_f32 v9, v7, v9, 0x48660b06
	v_fmaak_f32 v10, v7, v10, 0x487af6d0
	;; [unrolled: 1-line block ×4, first 2 shown]
	v_rcp_f32_e32 v18, v17
	v_fmaak_f32 v9, v7, v9, 0x4c8c277d
	v_fmaak_f32 v10, v7, v10, 0x4c9f4aa7
	;; [unrolled: 1-line block ×4, first 2 shown]
	v_ldexp_f32 v16, v8, v16
	v_fmaak_f32 v9, v7, v9, 0x508bc61d
	v_fmaak_f32 v10, v7, v10, 0x50a509fc
	;; [unrolled: 1-line block ×4, first 2 shown]
	v_log_f32_e32 v16, v16
	v_fmaak_f32 v9, v7, v9, 0x5461faf8
	v_fmaak_f32 v10, v7, v10, 0x548a37dc
	;; [unrolled: 1-line block ×3, first 2 shown]
	v_fma_f32 v23, -v17, v18, 1.0
	v_fmaak_f32 v9, v7, v9, 0x580d1937
	v_fmaak_f32 v10, v7, v10, 0x58325852
	;; [unrolled: 1-line block ×3, first 2 shown]
	v_fmac_f32_e32 v18, v23, v18
	v_mul_f32_e32 v27, 0x3f317217, v16
	v_fmaak_f32 v9, v7, v9, 0x5b741f1e
	v_fmaak_f32 v10, v7, v10, 0x5b9f0600
	v_fma_f32 v23, 0x3f317217, v16, -v27
	v_fmaak_f32 v9, v7, v9, 0x5e5c878d
	v_fmaak_f32 v7, v7, v10, 0x5e93bcac
	v_div_scale_f32 v10, null, v9, v9, v11
	v_div_scale_f32 v13, null, v7, v7, v12
	v_div_scale_f32 v21, vcc_lo, v11, v9, v11
	v_rcp_f32_e32 v14, v10
	v_rcp_f32_e32 v15, v13
	v_div_scale_f32 v22, s1, v12, v7, v12
	v_fma_f32 v19, -v10, v14, 1.0
	v_fma_f32 v20, -v13, v15, 1.0
	v_fmac_f32_e32 v14, v19, v14
	v_fmac_f32_e32 v15, v20, v15
	v_mul_f32_e32 v19, v21, v14
	v_mul_f32_e32 v20, v22, v15
	v_fma_f32 v24, -v10, v19, v21
	v_fma_f32 v25, -v13, v20, v22
	v_fmac_f32_e32 v19, v24, v14
	v_fmac_f32_e32 v20, v25, v15
	v_fma_f32 v10, -v10, v19, v21
	v_mul_f32_e32 v21, v26, v18
	v_fma_f32 v13, -v13, v20, v22
	v_div_fmas_f32 v10, v10, v14, v19
	s_mov_b32 vcc_lo, s1
	v_fma_f32 v14, -v17, v21, v26
	v_div_fmas_f32 v13, v13, v15, v20
	v_fmamk_f32 v15, v16, 0x3377d1cf, v23
	v_cmp_gt_f32_e64 vcc_lo, 0x7f800000, |v16|
	v_div_fixup_f32 v9, v10, v9, v11
	v_fmac_f32_e32 v21, v14, v18
	v_div_fixup_f32 v7, v13, v7, v12
	v_fmac_f32_e32 v15, 0x3f317217, v16
	v_fmaak_f32 v12, v8, v8, 0xc16ae95a
	v_fmaak_f32 v13, v8, v8, 0xc244dfb3
	v_fma_f32 v17, -v17, v21, v26
	v_mul_f32_e32 v7, v8, v7
	v_cndmask_b32_e32 v15, v16, v15, vcc_lo
	s_mov_b32 vcc_lo, s2
	v_cndmask_b32_e64 v14, 0, 0x41b17218, s0
	v_mul_f32_e32 v7, v12, v7
	v_div_fmas_f32 v12, v17, v18, v21
	v_sub_f32_e32 v14, v15, v14
	v_mul_f32_e32 v7, v13, v7
	v_div_fixup_f32 v12, v12, v8, -1.0
	v_fmac_f32_e32 v12, v14, v7
	v_mul_f32_e32 v7, 0x3f22f983, v12
	v_fmac_f32_e32 v7, v8, v9
.LBB19_108:
	s_or_b32 exec_lo, exec_lo, s9
.LBB19_109:
	s_or_b32 exec_lo, exec_lo, s8
                                        ; implicit-def: $vgpr8
.LBB19_110:
	s_andn2_saveexec_b32 s3, s3
	s_cbranch_execz .LBB19_120
; %bb.111:
	v_add_f32_e32 v7, 0xc016cbe4, v8
                                        ; implicit-def: $vgpr11
                                        ; implicit-def: $vgpr10
	v_and_b32_e32 v9, 0x7fffffff, v7
	v_cmp_ngt_f32_e64 s2, 0x48000000, |v7|
	v_lshrrev_b32_e32 v13, 23, v9
	s_and_saveexec_b32 s0, s2
	s_xor_b32 s8, exec_lo, s0
	s_cbranch_execz .LBB19_113
; %bb.112:
	s_mov_b32 s0, 0x7fffff
	v_mov_b32_e32 v12, 0
	v_and_or_b32 v20, v9, s0, 0x800000
	v_add_nc_u32_e32 v19, 0xffffff88, v13
	v_mad_u64_u32 v[10:11], null, 0xfe5163ab, v20, 0
	v_cmp_lt_u32_e32 vcc_lo, 63, v19
	v_cndmask_b32_e64 v21, 0, 0xffffffc0, vcc_lo
	v_mad_u64_u32 v[14:15], null, 0x3c439041, v20, v[11:12]
	v_add_nc_u32_e32 v21, v21, v19
	v_mov_b32_e32 v11, v15
	v_cmp_lt_u32_e64 s0, 31, v21
	v_mad_u64_u32 v[15:16], null, 0xdb629599, v20, v[11:12]
	v_cndmask_b32_e64 v22, 0, 0xffffffe0, s0
	v_mov_b32_e32 v11, v16
	v_cndmask_b32_e32 v10, v15, v10, vcc_lo
	v_mad_u64_u32 v[16:17], null, 0xf534ddc0, v20, v[11:12]
	v_mov_b32_e32 v11, v17
	v_cndmask_b32_e32 v14, v16, v14, vcc_lo
	v_mad_u64_u32 v[17:18], null, 0xfc2757d1, v20, v[11:12]
	v_cndmask_b32_e64 v10, v14, v10, s0
	v_mov_b32_e32 v11, v18
	v_mad_u64_u32 v[18:19], null, 0x4e441529, v20, v[11:12]
	v_mov_b32_e32 v11, v19
	v_add_nc_u32_e32 v19, v22, v21
	v_cndmask_b32_e32 v21, v18, v16, vcc_lo
	v_mad_u64_u32 v[11:12], null, 0xa2f9836e, v20, v[11:12]
	v_cmp_lt_u32_e64 s1, 31, v19
	v_cndmask_b32_e64 v20, 0, 0xffffffe0, s1
	v_cndmask_b32_e32 v11, v11, v17, vcc_lo
	v_cndmask_b32_e32 v12, v12, v18, vcc_lo
	;; [unrolled: 1-line block ×3, first 2 shown]
	v_add_nc_u32_e32 v18, v20, v19
	v_cndmask_b32_e64 v16, v11, v21, s0
	v_cndmask_b32_e64 v11, v12, v11, s0
	;; [unrolled: 1-line block ×4, first 2 shown]
	v_sub_nc_u32_e32 v19, 32, v18
	v_cmp_eq_u32_e32 vcc_lo, 0, v18
	v_cndmask_b32_e64 v11, v11, v16, s1
	v_cndmask_b32_e64 v16, v16, v12, s1
	;; [unrolled: 1-line block ×4, first 2 shown]
	v_alignbit_b32 v20, v11, v16, v19
	v_alignbit_b32 v15, v16, v12, v19
	v_alignbit_b32 v18, v12, v10, v19
	v_cndmask_b32_e32 v11, v20, v11, vcc_lo
	v_cndmask_b32_e32 v14, v15, v16, vcc_lo
	;; [unrolled: 1-line block ×3, first 2 shown]
	v_bfe_u32 v15, v11, 29, 1
	v_alignbit_b32 v16, v11, v14, 30
	v_alignbit_b32 v14, v14, v12, 30
	;; [unrolled: 1-line block ×3, first 2 shown]
	v_sub_nc_u32_e32 v17, 0, v15
	v_xor_b32_e32 v16, v16, v17
	v_xor_b32_e32 v12, v14, v17
	;; [unrolled: 1-line block ×3, first 2 shown]
	v_lshrrev_b32_e32 v17, 29, v11
	v_lshrrev_b32_e32 v11, 30, v11
	v_ffbh_u32_e32 v18, v16
	v_add_nc_u32_e32 v11, v15, v11
	v_min_u32_e32 v18, 32, v18
	v_sub_nc_u32_e32 v14, 31, v18
	v_lshlrev_b32_e32 v19, 23, v18
	v_alignbit_b32 v16, v16, v12, v14
	v_alignbit_b32 v10, v12, v10, v14
	v_lshlrev_b32_e32 v12, 31, v17
	v_alignbit_b32 v14, v16, v10, 9
	v_or_b32_e32 v17, 0.5, v12
	v_lshrrev_b32_e32 v16, 9, v16
	v_or_b32_e32 v12, 0x33000000, v12
	v_ffbh_u32_e32 v20, v14
	v_sub_nc_u32_e32 v17, v17, v19
	v_min_u32_e32 v19, 32, v20
	v_or_b32_e32 v16, v16, v17
	v_not_b32_e32 v17, v19
	v_mul_f32_e32 v20, 0x3fc90fda, v16
	v_add_lshl_u32 v18, v19, v18, 23
	v_alignbit_b32 v10, v14, v10, v17
	v_fma_f32 v14, 0x3fc90fda, v16, -v20
	v_sub_nc_u32_e32 v12, v12, v18
	v_lshrrev_b32_e32 v10, 9, v10
	v_fmamk_f32 v14, v16, 0x33a22168, v14
	v_or_b32_e32 v10, v12, v10
	v_fmac_f32_e32 v14, 0x3fc90fda, v10
	v_add_f32_e32 v10, v20, v14
	s_or_saveexec_b32 s0, s8
	v_mul_f32_e64 v15, 0x3f22f983, |v7|
	s_xor_b32 exec_lo, exec_lo, s0
	s_branch .LBB19_114
.LBB19_113:
	s_or_saveexec_b32 s0, s8
	v_mul_f32_e64 v15, 0x3f22f983, |v7|
	s_xor_b32 exec_lo, exec_lo, s0
.LBB19_114:
	v_rndne_f32_e32 v11, v15
	v_fma_f32 v10, 0xbfc90fda, v11, |v7|
	v_fmamk_f32 v10, v11, 0xb3a22168, v10
	v_fmamk_f32 v10, v11, 0xa7c234c4, v10
	v_cvt_i32_f32_e32 v11, v11
; %bb.115:
	s_or_b32 exec_lo, exec_lo, s0
                                        ; implicit-def: $vgpr14
                                        ; implicit-def: $vgpr12
	s_and_saveexec_b32 s0, s2
	s_xor_b32 s2, exec_lo, s0
	s_cbranch_execz .LBB19_117
; %bb.116:
	s_mov_b32 s0, 0x7fffff
	v_mov_b32_e32 v16, 0
	v_and_or_b32 v22, v9, s0, 0x800000
	v_mad_u64_u32 v[14:15], null, 0xfe5163ab, v22, 0
	v_mad_u64_u32 v[17:18], null, 0x3c439041, v22, v[15:16]
	v_mov_b32_e32 v15, v18
	v_mad_u64_u32 v[18:19], null, 0xdb629599, v22, v[15:16]
	v_mov_b32_e32 v15, v19
	;; [unrolled: 2-line block ×3, first 2 shown]
	v_add_nc_u32_e32 v20, 0xffffff88, v13
	v_mad_u64_u32 v[12:13], null, 0xfc2757d1, v22, v[15:16]
	v_cmp_lt_u32_e32 vcc_lo, 63, v20
	v_cndmask_b32_e64 v21, 0, 0xffffffc0, vcc_lo
	v_mov_b32_e32 v15, v13
	v_cndmask_b32_e32 v17, v19, v17, vcc_lo
	v_cndmask_b32_e32 v14, v18, v14, vcc_lo
	v_add_nc_u32_e32 v13, v21, v20
	v_mad_u64_u32 v[20:21], null, 0x4e441529, v22, v[15:16]
	v_cmp_lt_u32_e64 s0, 31, v13
	v_mov_b32_e32 v15, v21
	v_cndmask_b32_e64 v23, 0, 0xffffffe0, s0
	v_cndmask_b32_e64 v14, v17, v14, s0
	v_mad_u64_u32 v[15:16], null, 0xa2f9836e, v22, v[15:16]
	v_add_nc_u32_e32 v13, v23, v13
	v_cndmask_b32_e32 v22, v20, v19, vcc_lo
	v_cmp_lt_u32_e64 s1, 31, v13
	v_cndmask_b32_e32 v15, v15, v12, vcc_lo
	v_cndmask_b32_e32 v16, v16, v20, vcc_lo
	;; [unrolled: 1-line block ×3, first 2 shown]
	v_cndmask_b32_e64 v21, 0, 0xffffffe0, s1
	v_cndmask_b32_e64 v19, v15, v22, s0
	;; [unrolled: 1-line block ×5, first 2 shown]
	v_add_nc_u32_e32 v13, v21, v13
	v_cndmask_b32_e64 v15, v15, v19, s1
	v_cndmask_b32_e64 v19, v19, v16, s1
	;; [unrolled: 1-line block ×3, first 2 shown]
	v_sub_nc_u32_e32 v20, 32, v13
	v_cmp_eq_u32_e32 vcc_lo, 0, v13
	v_cndmask_b32_e64 v12, v12, v14, s1
	v_alignbit_b32 v21, v15, v19, v20
	v_alignbit_b32 v18, v19, v16, v20
	v_cndmask_b32_e32 v13, v21, v15, vcc_lo
	v_cndmask_b32_e32 v15, v18, v19, vcc_lo
	v_alignbit_b32 v19, v16, v12, v20
	v_bfe_u32 v17, v13, 29, 1
	v_alignbit_b32 v14, v13, v15, 30
	v_cndmask_b32_e32 v16, v19, v16, vcc_lo
	v_sub_nc_u32_e32 v18, 0, v17
	v_alignbit_b32 v15, v15, v16, 30
	v_alignbit_b32 v12, v16, v12, 30
	v_xor_b32_e32 v14, v14, v18
	v_xor_b32_e32 v15, v15, v18
	;; [unrolled: 1-line block ×3, first 2 shown]
	v_lshrrev_b32_e32 v18, 29, v13
	v_ffbh_u32_e32 v19, v14
	v_lshrrev_b32_e32 v13, 30, v13
	v_min_u32_e32 v19, 32, v19
	v_sub_nc_u32_e32 v16, 31, v19
	v_lshlrev_b32_e32 v20, 23, v19
	v_alignbit_b32 v14, v14, v15, v16
	v_alignbit_b32 v12, v15, v12, v16
	v_lshlrev_b32_e32 v15, 31, v18
	v_alignbit_b32 v16, v14, v12, 9
	v_or_b32_e32 v18, 0.5, v15
	v_lshrrev_b32_e32 v14, 9, v14
	v_or_b32_e32 v15, 0x33000000, v15
	v_ffbh_u32_e32 v21, v16
	v_sub_nc_u32_e32 v18, v18, v20
	v_min_u32_e32 v20, 32, v21
	v_or_b32_e32 v14, v14, v18
	v_not_b32_e32 v18, v20
	v_mul_f32_e32 v21, 0x3fc90fda, v14
	v_add_lshl_u32 v19, v20, v19, 23
	v_alignbit_b32 v12, v16, v12, v18
	v_fma_f32 v16, 0x3fc90fda, v14, -v21
	v_sub_nc_u32_e32 v15, v15, v19
	v_lshrrev_b32_e32 v12, 9, v12
	v_fmamk_f32 v14, v14, 0x33a22168, v16
	v_or_b32_e32 v12, v15, v12
                                        ; implicit-def: $vgpr15
	v_fmac_f32_e32 v14, 0x3fc90fda, v12
	v_add_f32_e32 v12, v21, v14
	v_add_nc_u32_e32 v14, v17, v13
	s_andn2_saveexec_b32 s0, s2
	s_cbranch_execnz .LBB19_118
	s_branch .LBB19_119
.LBB19_117:
	s_andn2_saveexec_b32 s0, s2
.LBB19_118:
	v_rndne_f32_e32 v13, v15
	v_fma_f32 v12, 0xbfc90fda, v13, |v7|
	v_cvt_i32_f32_e32 v14, v13
	v_fmamk_f32 v12, v13, 0xb3a22168, v12
	v_fmamk_f32 v12, v13, 0xa7c234c4, v12
.LBB19_119:
	s_or_b32 exec_lo, exec_lo, s0
	v_div_scale_f32 v13, null, v8, v8, 0x40a00000
	v_div_scale_f32 v17, vcc_lo, 0x40a00000, v8, 0x40a00000
	s_mov_b32 s0, 0xb94c1982
	v_rcp_f32_e32 v15, v13
	v_mul_f32_e32 v24, 0x4f800000, v8
	s_mov_b32 s1, 0x37d75334
	v_and_b32_e32 v19, 1, v14
	v_xor_b32_e32 v9, v9, v7
	v_lshlrev_b32_e32 v14, 30, v14
	v_and_b32_e32 v14, 0x80000000, v14
	v_fma_f32 v16, -v13, v15, 1.0
	v_fmac_f32_e32 v15, v16, v15
	v_mul_f32_e32 v16, v17, v15
	v_fma_f32 v18, -v13, v16, v17
	v_fmac_f32_e32 v16, v18, v15
	v_mul_f32_e32 v18, v12, v12
	v_fma_f32 v13, -v13, v16, v17
	v_fmaak_f32 v27, s0, v18, 0x3c0881c4
	v_fmaak_f32 v28, s1, v18, 0xbab64f3b
	v_div_fmas_f32 v13, v13, v15, v16
	v_mul_f32_e32 v15, v10, v10
	v_fmaak_f32 v28, v18, v28, 0x3d2aabf7
	v_and_b32_e32 v16, 1, v11
	v_fmaak_f32 v27, v18, v27, 0xbe2aaa9d
	v_div_fixup_f32 v13, v13, v8, 0x40a00000
	v_fmaak_f32 v25, s0, v15, 0x3c0881c4
	v_cmp_gt_f32_e64 s0, 0xf800000, v8
	v_fmaak_f32 v26, s1, v15, 0xbab64f3b
	v_fmaak_f32 v28, v18, v28, 0xbf000004
	v_mul_f32_e32 v17, v13, v13
	v_fmaak_f32 v25, v15, v25, 0xbe2aaa9d
	v_cndmask_b32_e64 v8, v8, v24, s0
	v_fmaak_f32 v26, v15, v26, 0x3d2aabf7
	v_mul_f32_e32 v27, v18, v27
	v_fmaak_f32 v20, 0, v17, 0x3d513fd3
	v_fmaak_f32 v21, 0, v17, 0x3a15c4d9
	v_fmaak_f32 v22, 0, v17, 0x3a47c962
	v_fmaak_f32 v23, 0, v17, 0x42947983
	v_mul_f32_e32 v25, v15, v25
	v_fmaak_f32 v20, v17, v20, 0x409f6dae
	v_fmaak_f32 v21, v17, v21, 0x3d8cfeeb
	;; [unrolled: 1-line block ×9, first 2 shown]
	v_fmac_f32_e32 v10, v10, v25
	v_fmaak_f32 v20, v17, v20, 0x43b763ca
	v_fmaak_f32 v21, v17, v21, 0x40a25d18
	;; [unrolled: 1-line block ×4, first 2 shown]
	v_sqrt_f32_e32 v31, v8
	v_fmaak_f32 v20, v17, v20, 0x4431b6ce
	v_fmaak_f32 v21, v17, v21, 0x410665cf
	;; [unrolled: 1-line block ×4, first 2 shown]
	v_fma_f32 v15, v15, v26, 1.0
	v_fmaak_f32 v20, v17, v20, 0x44155f56
	v_fmaak_f32 v21, v17, v21, 0x40a6b6ea
	;; [unrolled: 1-line block ×4, first 2 shown]
	v_fma_f32 v18, v18, v28, 1.0
	v_fmaak_f32 v20, v17, v20, 0x4353b052
	v_fma_f32 v21, v17, v21, 1.0
	v_fma_f32 v22, v17, v22, 1.0
	v_fmaak_f32 v23, v17, v23, 0x43a80bfb
	v_cmp_eq_u32_e64 s2, 0, v16
	v_fmaak_f32 v17, v17, v20, 0x41c9a7fa
	v_lshlrev_b32_e32 v11, 30, v11
	v_div_scale_f32 v20, null, v21, v21, v22
	v_div_scale_f32 v34, vcc_lo, v22, v21, v22
	v_div_scale_f32 v29, null, v23, v23, v17
	v_rcp_f32_e32 v24, v20
	v_fmac_f32_e32 v12, v12, v27
	v_cndmask_b32_e64 v10, v15, v10, s2
	v_rcp_f32_e32 v30, v29
	v_cmp_eq_u32_e64 s2, 0, v19
	v_and_b32_e32 v11, 0x80000000, v11
	v_add_nc_u32_e32 v27, -1, v31
	v_cndmask_b32_e64 v12, -v12, v18, s2
	v_fma_f32 v32, -v20, v24, 1.0
	v_fma_f32 v15, -v27, v31, v8
	v_xor3_b32 v9, v9, v11, v10
	v_fma_f32 v33, -v29, v30, 1.0
	v_xor_b32_e32 v12, v14, v12
	v_fmac_f32_e32 v24, v32, v24
	v_div_scale_f32 v32, s1, v17, v23, v17
	v_fmac_f32_e32 v30, v33, v30
	v_add_nc_u32_e32 v33, 1, v31
	v_mul_f32_e32 v25, v34, v24
	v_mul_f32_e32 v26, v32, v30
	v_fma_f32 v16, -v33, v31, v8
	v_fma_f32 v28, -v20, v25, v34
	;; [unrolled: 1-line block ×3, first 2 shown]
	v_fmac_f32_e32 v25, v28, v24
	v_fmac_f32_e32 v26, v35, v30
	v_fma_f32 v18, -v20, v25, v34
	v_fma_f32 v10, -v29, v26, v32
	v_div_fmas_f32 v11, v18, v24, v25
	s_mov_b32 vcc_lo, s1
	v_cmp_ge_f32_e64 s1, 0, v15
	v_div_fmas_f32 v10, v10, v30, v26
	v_cmp_class_f32_e64 vcc_lo, v7, 0x1f8
	v_div_fixup_f32 v11, v11, v21, v22
	v_cndmask_b32_e64 v7, v31, v27, s1
	v_div_fixup_f32 v10, v10, v23, v17
	v_cmp_lt_f32_e64 s1, 0, v16
	v_cndmask_b32_e32 v12, 0x7fc00000, v12, vcc_lo
	v_cndmask_b32_e32 v9, 0x7fc00000, v9, vcc_lo
	v_cmp_class_f32_e64 vcc_lo, v8, 0x260
	v_mul_f32_e32 v10, v13, v10
	v_cndmask_b32_e64 v7, v7, v33, s1
	v_mul_f32_e32 v10, v10, v12
	v_mul_f32_e32 v13, 0x37800000, v7
	v_fmac_f32_e32 v10, v11, v9
	v_cndmask_b32_e64 v7, v7, v13, s0
	v_cndmask_b32_e32 v7, v7, v8, vcc_lo
	v_mul_f32_e32 v8, 0x3f4c422a, v10
	v_div_scale_f32 v9, null, v7, v7, v8
	v_rcp_f32_e32 v10, v9
	v_fma_f32 v11, -v9, v10, 1.0
	v_fmac_f32_e32 v10, v11, v10
	v_div_scale_f32 v11, vcc_lo, v8, v7, v8
	v_mul_f32_e32 v12, v11, v10
	v_fma_f32 v13, -v9, v12, v11
	v_fmac_f32_e32 v12, v13, v10
	v_fma_f32 v9, -v9, v12, v11
	v_div_fmas_f32 v9, v9, v10, v12
	v_div_fixup_f32 v7, v9, v7, v8
.LBB19_120:
	s_or_b32 exec_lo, exec_lo, s3
	global_load_dword v5, v5, s[6:7]
                                        ; implicit-def: $vgpr8
	s_mov_b32 s0, exec_lo
	s_waitcnt vmcnt(0)
	v_cmpx_ge_f32_e32 0x40a00000, v5
	s_xor_b32 s3, exec_lo, s0
	s_cbranch_execz .LBB19_126
; %bb.121:
	v_mov_b32_e32 v8, 0xff800000
	s_mov_b32 s6, exec_lo
	v_cmpx_neq_f32_e32 0, v5
	s_cbranch_execz .LBB19_125
; %bb.122:
	v_mov_b32_e32 v8, 0x7fc00000
	s_mov_b32 s7, exec_lo
	v_cmpx_nge_f32_e32 0, v5
	s_cbranch_execz .LBB19_124
; %bb.123:
	v_mul_f32_e32 v8, v5, v5
	v_cmp_gt_f32_e64 s0, 0x800000, v5
	v_div_scale_f32 v17, null, v5, v5, -1.0
	v_div_scale_f32 v26, s2, -1.0, v5, -1.0
	v_fmaak_f32 v9, 0, v8, 0x4414934d
	v_fmaak_f32 v10, 0, v8, 0x441b3589
	;; [unrolled: 1-line block ×4, first 2 shown]
	v_cndmask_b32_e64 v16, 0, 32, s0
	v_fmaak_f32 v9, v8, v9, 0x48660b06
	v_fmaak_f32 v10, v8, v10, 0x487af6d0
	;; [unrolled: 1-line block ×4, first 2 shown]
	v_rcp_f32_e32 v18, v17
	v_fmaak_f32 v9, v8, v9, 0x4c8c277d
	v_fmaak_f32 v10, v8, v10, 0x4c9f4aa7
	;; [unrolled: 1-line block ×4, first 2 shown]
	v_ldexp_f32 v16, v5, v16
	v_fmaak_f32 v9, v8, v9, 0x508bc61d
	v_fmaak_f32 v10, v8, v10, 0x50a509fc
	;; [unrolled: 1-line block ×4, first 2 shown]
	v_log_f32_e32 v16, v16
	v_fmaak_f32 v9, v8, v9, 0x5461faf8
	v_fmaak_f32 v10, v8, v10, 0x548a37dc
	v_fmaak_f32 v11, v8, v11, 0x5c33cd68
	v_fma_f32 v23, -v17, v18, 1.0
	v_fmaak_f32 v9, v8, v9, 0x580d1937
	v_fmaak_f32 v10, v8, v10, 0x58325852
	;; [unrolled: 1-line block ×3, first 2 shown]
	v_fmac_f32_e32 v18, v23, v18
	v_mul_f32_e32 v27, 0x3f317217, v16
	v_fmaak_f32 v9, v8, v9, 0x5b741f1e
	v_fmaak_f32 v10, v8, v10, 0x5b9f0600
	v_fma_f32 v23, 0x3f317217, v16, -v27
	v_fmaak_f32 v9, v8, v9, 0x5e5c878d
	v_fmaak_f32 v8, v8, v10, 0x5e93bcac
	v_div_scale_f32 v10, null, v9, v9, v11
	v_div_scale_f32 v13, null, v8, v8, v12
	v_div_scale_f32 v21, vcc_lo, v11, v9, v11
	v_rcp_f32_e32 v14, v10
	v_rcp_f32_e32 v15, v13
	v_div_scale_f32 v22, s1, v12, v8, v12
	v_fma_f32 v19, -v10, v14, 1.0
	v_fma_f32 v20, -v13, v15, 1.0
	v_fmac_f32_e32 v14, v19, v14
	v_fmac_f32_e32 v15, v20, v15
	v_mul_f32_e32 v19, v21, v14
	v_mul_f32_e32 v20, v22, v15
	v_fma_f32 v24, -v10, v19, v21
	v_fma_f32 v25, -v13, v20, v22
	v_fmac_f32_e32 v19, v24, v14
	v_fmac_f32_e32 v20, v25, v15
	v_fma_f32 v10, -v10, v19, v21
	v_mul_f32_e32 v21, v26, v18
	v_fma_f32 v13, -v13, v20, v22
	v_div_fmas_f32 v10, v10, v14, v19
	s_mov_b32 vcc_lo, s1
	v_fma_f32 v14, -v17, v21, v26
	v_div_fmas_f32 v13, v13, v15, v20
	v_fmamk_f32 v15, v16, 0x3377d1cf, v23
	v_cmp_gt_f32_e64 vcc_lo, 0x7f800000, |v16|
	v_div_fixup_f32 v9, v10, v9, v11
	v_fmac_f32_e32 v21, v14, v18
	v_div_fixup_f32 v8, v13, v8, v12
	v_fmac_f32_e32 v15, 0x3f317217, v16
	v_fmaak_f32 v12, v5, v5, 0xc16ae95a
	v_fmaak_f32 v13, v5, v5, 0xc244dfb3
	v_fma_f32 v17, -v17, v21, v26
	v_mul_f32_e32 v8, v5, v8
	v_cndmask_b32_e32 v15, v16, v15, vcc_lo
	s_mov_b32 vcc_lo, s2
	v_cndmask_b32_e64 v14, 0, 0x41b17218, s0
	v_mul_f32_e32 v8, v12, v8
	v_div_fmas_f32 v12, v17, v18, v21
	v_sub_f32_e32 v14, v15, v14
	v_mul_f32_e32 v8, v13, v8
	v_div_fixup_f32 v12, v12, v5, -1.0
	v_fmac_f32_e32 v12, v14, v8
	v_mul_f32_e32 v8, 0x3f22f983, v12
	v_fmac_f32_e32 v8, v5, v9
.LBB19_124:
	s_or_b32 exec_lo, exec_lo, s7
.LBB19_125:
	s_or_b32 exec_lo, exec_lo, s6
                                        ; implicit-def: $vgpr5
.LBB19_126:
	s_andn2_saveexec_b32 s3, s3
	s_cbranch_execz .LBB19_136
; %bb.127:
	v_add_f32_e32 v8, 0xc016cbe4, v5
                                        ; implicit-def: $vgpr11
                                        ; implicit-def: $vgpr10
	v_and_b32_e32 v9, 0x7fffffff, v8
	v_cmp_ngt_f32_e64 s2, 0x48000000, |v8|
	v_lshrrev_b32_e32 v13, 23, v9
	s_and_saveexec_b32 s0, s2
	s_xor_b32 s6, exec_lo, s0
	s_cbranch_execz .LBB19_129
; %bb.128:
	s_mov_b32 s0, 0x7fffff
	v_mov_b32_e32 v12, 0
	v_and_or_b32 v20, v9, s0, 0x800000
	v_add_nc_u32_e32 v19, 0xffffff88, v13
	v_mad_u64_u32 v[10:11], null, 0xfe5163ab, v20, 0
	v_cmp_lt_u32_e32 vcc_lo, 63, v19
	v_cndmask_b32_e64 v21, 0, 0xffffffc0, vcc_lo
	v_mad_u64_u32 v[14:15], null, 0x3c439041, v20, v[11:12]
	v_add_nc_u32_e32 v21, v21, v19
	v_mov_b32_e32 v11, v15
	v_cmp_lt_u32_e64 s0, 31, v21
	v_mad_u64_u32 v[15:16], null, 0xdb629599, v20, v[11:12]
	v_cndmask_b32_e64 v22, 0, 0xffffffe0, s0
	v_mov_b32_e32 v11, v16
	v_cndmask_b32_e32 v10, v15, v10, vcc_lo
	v_mad_u64_u32 v[16:17], null, 0xf534ddc0, v20, v[11:12]
	v_mov_b32_e32 v11, v17
	v_cndmask_b32_e32 v14, v16, v14, vcc_lo
	v_mad_u64_u32 v[17:18], null, 0xfc2757d1, v20, v[11:12]
	v_cndmask_b32_e64 v10, v14, v10, s0
	v_mov_b32_e32 v11, v18
	v_mad_u64_u32 v[18:19], null, 0x4e441529, v20, v[11:12]
	v_mov_b32_e32 v11, v19
	v_add_nc_u32_e32 v19, v22, v21
	v_cndmask_b32_e32 v21, v18, v16, vcc_lo
	v_mad_u64_u32 v[11:12], null, 0xa2f9836e, v20, v[11:12]
	v_cmp_lt_u32_e64 s1, 31, v19
	v_cndmask_b32_e64 v20, 0, 0xffffffe0, s1
	v_cndmask_b32_e32 v11, v11, v17, vcc_lo
	v_cndmask_b32_e32 v12, v12, v18, vcc_lo
	;; [unrolled: 1-line block ×3, first 2 shown]
	v_add_nc_u32_e32 v18, v20, v19
	v_cndmask_b32_e64 v16, v11, v21, s0
	v_cndmask_b32_e64 v11, v12, v11, s0
	;; [unrolled: 1-line block ×4, first 2 shown]
	v_sub_nc_u32_e32 v19, 32, v18
	v_cmp_eq_u32_e32 vcc_lo, 0, v18
	v_cndmask_b32_e64 v11, v11, v16, s1
	v_cndmask_b32_e64 v16, v16, v12, s1
	;; [unrolled: 1-line block ×4, first 2 shown]
	v_alignbit_b32 v20, v11, v16, v19
	v_alignbit_b32 v15, v16, v12, v19
	;; [unrolled: 1-line block ×3, first 2 shown]
	v_cndmask_b32_e32 v11, v20, v11, vcc_lo
	v_cndmask_b32_e32 v14, v15, v16, vcc_lo
	;; [unrolled: 1-line block ×3, first 2 shown]
	v_bfe_u32 v15, v11, 29, 1
	v_alignbit_b32 v16, v11, v14, 30
	v_alignbit_b32 v14, v14, v12, 30
	;; [unrolled: 1-line block ×3, first 2 shown]
	v_sub_nc_u32_e32 v17, 0, v15
	v_xor_b32_e32 v16, v16, v17
	v_xor_b32_e32 v12, v14, v17
	;; [unrolled: 1-line block ×3, first 2 shown]
	v_lshrrev_b32_e32 v17, 29, v11
	v_lshrrev_b32_e32 v11, 30, v11
	v_ffbh_u32_e32 v18, v16
	v_add_nc_u32_e32 v11, v15, v11
	v_min_u32_e32 v18, 32, v18
	v_sub_nc_u32_e32 v14, 31, v18
	v_lshlrev_b32_e32 v19, 23, v18
	v_alignbit_b32 v16, v16, v12, v14
	v_alignbit_b32 v10, v12, v10, v14
	v_lshlrev_b32_e32 v12, 31, v17
	v_alignbit_b32 v14, v16, v10, 9
	v_or_b32_e32 v17, 0.5, v12
	v_lshrrev_b32_e32 v16, 9, v16
	v_or_b32_e32 v12, 0x33000000, v12
	v_ffbh_u32_e32 v20, v14
	v_sub_nc_u32_e32 v17, v17, v19
	v_min_u32_e32 v19, 32, v20
	v_or_b32_e32 v16, v16, v17
	v_not_b32_e32 v17, v19
	v_mul_f32_e32 v20, 0x3fc90fda, v16
	v_add_lshl_u32 v18, v19, v18, 23
	v_alignbit_b32 v10, v14, v10, v17
	v_fma_f32 v14, 0x3fc90fda, v16, -v20
	v_sub_nc_u32_e32 v12, v12, v18
	v_lshrrev_b32_e32 v10, 9, v10
	v_fmamk_f32 v14, v16, 0x33a22168, v14
	v_or_b32_e32 v10, v12, v10
	v_fmac_f32_e32 v14, 0x3fc90fda, v10
	v_add_f32_e32 v10, v20, v14
	s_or_saveexec_b32 s0, s6
	v_mul_f32_e64 v15, 0x3f22f983, |v8|
	s_xor_b32 exec_lo, exec_lo, s0
	s_branch .LBB19_130
.LBB19_129:
	s_or_saveexec_b32 s0, s6
	v_mul_f32_e64 v15, 0x3f22f983, |v8|
	s_xor_b32 exec_lo, exec_lo, s0
.LBB19_130:
	v_rndne_f32_e32 v11, v15
	v_fma_f32 v10, 0xbfc90fda, v11, |v8|
	v_fmamk_f32 v10, v11, 0xb3a22168, v10
	v_fmamk_f32 v10, v11, 0xa7c234c4, v10
	v_cvt_i32_f32_e32 v11, v11
; %bb.131:
	s_or_b32 exec_lo, exec_lo, s0
                                        ; implicit-def: $vgpr14
                                        ; implicit-def: $vgpr12
	s_and_saveexec_b32 s0, s2
	s_xor_b32 s2, exec_lo, s0
	s_cbranch_execz .LBB19_133
; %bb.132:
	s_mov_b32 s0, 0x7fffff
	v_mov_b32_e32 v16, 0
	v_and_or_b32 v22, v9, s0, 0x800000
	v_mad_u64_u32 v[14:15], null, 0xfe5163ab, v22, 0
	v_mad_u64_u32 v[17:18], null, 0x3c439041, v22, v[15:16]
	v_mov_b32_e32 v15, v18
	v_mad_u64_u32 v[18:19], null, 0xdb629599, v22, v[15:16]
	v_mov_b32_e32 v15, v19
	v_mad_u64_u32 v[19:20], null, 0xf534ddc0, v22, v[15:16]
	v_mov_b32_e32 v15, v20
	v_add_nc_u32_e32 v20, 0xffffff88, v13
	v_mad_u64_u32 v[12:13], null, 0xfc2757d1, v22, v[15:16]
	v_cmp_lt_u32_e32 vcc_lo, 63, v20
	v_cndmask_b32_e64 v21, 0, 0xffffffc0, vcc_lo
	v_mov_b32_e32 v15, v13
	v_cndmask_b32_e32 v17, v19, v17, vcc_lo
	v_cndmask_b32_e32 v14, v18, v14, vcc_lo
	v_add_nc_u32_e32 v13, v21, v20
	v_mad_u64_u32 v[20:21], null, 0x4e441529, v22, v[15:16]
	v_cmp_lt_u32_e64 s0, 31, v13
	v_mov_b32_e32 v15, v21
	v_cndmask_b32_e64 v23, 0, 0xffffffe0, s0
	v_cndmask_b32_e64 v14, v17, v14, s0
	v_mad_u64_u32 v[15:16], null, 0xa2f9836e, v22, v[15:16]
	v_add_nc_u32_e32 v13, v23, v13
	v_cndmask_b32_e32 v22, v20, v19, vcc_lo
	v_cmp_lt_u32_e64 s1, 31, v13
	v_cndmask_b32_e32 v15, v15, v12, vcc_lo
	v_cndmask_b32_e32 v16, v16, v20, vcc_lo
	;; [unrolled: 1-line block ×3, first 2 shown]
	v_cndmask_b32_e64 v21, 0, 0xffffffe0, s1
	v_cndmask_b32_e64 v19, v15, v22, s0
	;; [unrolled: 1-line block ×5, first 2 shown]
	v_add_nc_u32_e32 v13, v21, v13
	v_cndmask_b32_e64 v15, v15, v19, s1
	v_cndmask_b32_e64 v19, v19, v16, s1
	;; [unrolled: 1-line block ×3, first 2 shown]
	v_sub_nc_u32_e32 v20, 32, v13
	v_cmp_eq_u32_e32 vcc_lo, 0, v13
	v_cndmask_b32_e64 v12, v12, v14, s1
	v_alignbit_b32 v21, v15, v19, v20
	v_alignbit_b32 v18, v19, v16, v20
	v_cndmask_b32_e32 v13, v21, v15, vcc_lo
	v_cndmask_b32_e32 v15, v18, v19, vcc_lo
	v_alignbit_b32 v19, v16, v12, v20
	v_bfe_u32 v17, v13, 29, 1
	v_alignbit_b32 v14, v13, v15, 30
	v_cndmask_b32_e32 v16, v19, v16, vcc_lo
	v_sub_nc_u32_e32 v18, 0, v17
	v_alignbit_b32 v15, v15, v16, 30
	v_alignbit_b32 v12, v16, v12, 30
	v_xor_b32_e32 v14, v14, v18
	v_xor_b32_e32 v15, v15, v18
	;; [unrolled: 1-line block ×3, first 2 shown]
	v_lshrrev_b32_e32 v18, 29, v13
	v_ffbh_u32_e32 v19, v14
	v_lshrrev_b32_e32 v13, 30, v13
	v_min_u32_e32 v19, 32, v19
	v_sub_nc_u32_e32 v16, 31, v19
	v_lshlrev_b32_e32 v20, 23, v19
	v_alignbit_b32 v14, v14, v15, v16
	v_alignbit_b32 v12, v15, v12, v16
	v_lshlrev_b32_e32 v15, 31, v18
	v_alignbit_b32 v16, v14, v12, 9
	v_or_b32_e32 v18, 0.5, v15
	v_lshrrev_b32_e32 v14, 9, v14
	v_or_b32_e32 v15, 0x33000000, v15
	v_ffbh_u32_e32 v21, v16
	v_sub_nc_u32_e32 v18, v18, v20
	v_min_u32_e32 v20, 32, v21
	v_or_b32_e32 v14, v14, v18
	v_not_b32_e32 v18, v20
	v_mul_f32_e32 v21, 0x3fc90fda, v14
	v_add_lshl_u32 v19, v20, v19, 23
	v_alignbit_b32 v12, v16, v12, v18
	v_fma_f32 v16, 0x3fc90fda, v14, -v21
	v_sub_nc_u32_e32 v15, v15, v19
	v_lshrrev_b32_e32 v12, 9, v12
	v_fmamk_f32 v14, v14, 0x33a22168, v16
	v_or_b32_e32 v12, v15, v12
                                        ; implicit-def: $vgpr15
	v_fmac_f32_e32 v14, 0x3fc90fda, v12
	v_add_f32_e32 v12, v21, v14
	v_add_nc_u32_e32 v14, v17, v13
	s_andn2_saveexec_b32 s0, s2
	s_cbranch_execnz .LBB19_134
	s_branch .LBB19_135
.LBB19_133:
	s_andn2_saveexec_b32 s0, s2
.LBB19_134:
	v_rndne_f32_e32 v13, v15
	v_fma_f32 v12, 0xbfc90fda, v13, |v8|
	v_cvt_i32_f32_e32 v14, v13
	v_fmamk_f32 v12, v13, 0xb3a22168, v12
	v_fmamk_f32 v12, v13, 0xa7c234c4, v12
.LBB19_135:
	s_or_b32 exec_lo, exec_lo, s0
	v_div_scale_f32 v13, null, v5, v5, 0x40a00000
	v_div_scale_f32 v17, vcc_lo, 0x40a00000, v5, 0x40a00000
	s_mov_b32 s0, 0xb94c1982
	v_rcp_f32_e32 v15, v13
	v_mul_f32_e32 v24, 0x4f800000, v5
	s_mov_b32 s1, 0x37d75334
	v_and_b32_e32 v19, 1, v14
	v_xor_b32_e32 v9, v9, v8
	v_lshlrev_b32_e32 v14, 30, v14
	v_and_b32_e32 v14, 0x80000000, v14
	v_fma_f32 v16, -v13, v15, 1.0
	v_fmac_f32_e32 v15, v16, v15
	v_mul_f32_e32 v16, v17, v15
	v_fma_f32 v18, -v13, v16, v17
	v_fmac_f32_e32 v16, v18, v15
	v_mul_f32_e32 v18, v12, v12
	v_fma_f32 v13, -v13, v16, v17
	v_fmaak_f32 v27, s0, v18, 0x3c0881c4
	v_fmaak_f32 v28, s1, v18, 0xbab64f3b
	v_div_fmas_f32 v13, v13, v15, v16
	v_mul_f32_e32 v15, v10, v10
	v_fmaak_f32 v28, v18, v28, 0x3d2aabf7
	v_and_b32_e32 v16, 1, v11
	v_fmaak_f32 v27, v18, v27, 0xbe2aaa9d
	v_div_fixup_f32 v13, v13, v5, 0x40a00000
	v_fmaak_f32 v25, s0, v15, 0x3c0881c4
	v_cmp_gt_f32_e64 s0, 0xf800000, v5
	v_fmaak_f32 v26, s1, v15, 0xbab64f3b
	v_fmaak_f32 v28, v18, v28, 0xbf000004
	v_mul_f32_e32 v17, v13, v13
	v_fmaak_f32 v25, v15, v25, 0xbe2aaa9d
	v_cndmask_b32_e64 v5, v5, v24, s0
	v_fmaak_f32 v26, v15, v26, 0x3d2aabf7
	v_mul_f32_e32 v27, v18, v27
	v_fmaak_f32 v20, 0, v17, 0x3d513fd3
	v_fmaak_f32 v21, 0, v17, 0x3a15c4d9
	;; [unrolled: 1-line block ×4, first 2 shown]
	v_mul_f32_e32 v25, v15, v25
	v_fmaak_f32 v20, v17, v20, 0x409f6dae
	v_fmaak_f32 v21, v17, v21, 0x3d8cfeeb
	;; [unrolled: 1-line block ×9, first 2 shown]
	v_fmac_f32_e32 v10, v10, v25
	v_fmaak_f32 v20, v17, v20, 0x43b763ca
	v_fmaak_f32 v21, v17, v21, 0x40a25d18
	v_fmaak_f32 v22, v17, v22, 0x40a39628
	v_fmaak_f32 v23, v17, v23, 0x46156947
	v_sqrt_f32_e32 v31, v5
	v_fmaak_f32 v20, v17, v20, 0x4431b6ce
	v_fmaak_f32 v21, v17, v21, 0x410665cf
	;; [unrolled: 1-line block ×4, first 2 shown]
	v_fma_f32 v15, v15, v26, 1.0
	v_fmaak_f32 v20, v17, v20, 0x44155f56
	v_fmaak_f32 v21, v17, v21, 0x40a6b6ea
	;; [unrolled: 1-line block ×4, first 2 shown]
	v_fma_f32 v18, v18, v28, 1.0
	v_fmaak_f32 v20, v17, v20, 0x4353b052
	v_fma_f32 v21, v17, v21, 1.0
	v_fma_f32 v22, v17, v22, 1.0
	v_fmaak_f32 v23, v17, v23, 0x43a80bfb
	v_cmp_eq_u32_e64 s2, 0, v16
	v_fmaak_f32 v17, v17, v20, 0x41c9a7fa
	v_lshlrev_b32_e32 v11, 30, v11
	v_div_scale_f32 v20, null, v21, v21, v22
	v_div_scale_f32 v34, vcc_lo, v22, v21, v22
	v_div_scale_f32 v29, null, v23, v23, v17
	v_rcp_f32_e32 v24, v20
	v_fmac_f32_e32 v12, v12, v27
	v_cndmask_b32_e64 v10, v15, v10, s2
	v_rcp_f32_e32 v30, v29
	v_cmp_eq_u32_e64 s2, 0, v19
	v_and_b32_e32 v11, 0x80000000, v11
	v_add_nc_u32_e32 v27, -1, v31
	v_cndmask_b32_e64 v12, -v12, v18, s2
	v_fma_f32 v32, -v20, v24, 1.0
	v_fma_f32 v15, -v27, v31, v5
	v_xor3_b32 v9, v9, v11, v10
	v_fma_f32 v33, -v29, v30, 1.0
	v_xor_b32_e32 v12, v14, v12
	v_fmac_f32_e32 v24, v32, v24
	v_div_scale_f32 v32, s1, v17, v23, v17
	v_fmac_f32_e32 v30, v33, v30
	v_add_nc_u32_e32 v33, 1, v31
	v_mul_f32_e32 v25, v34, v24
	v_mul_f32_e32 v26, v32, v30
	v_fma_f32 v16, -v33, v31, v5
	v_fma_f32 v28, -v20, v25, v34
	v_fma_f32 v35, -v29, v26, v32
	v_fmac_f32_e32 v25, v28, v24
	v_fmac_f32_e32 v26, v35, v30
	v_fma_f32 v18, -v20, v25, v34
	v_fma_f32 v10, -v29, v26, v32
	v_div_fmas_f32 v11, v18, v24, v25
	s_mov_b32 vcc_lo, s1
	v_cmp_ge_f32_e64 s1, 0, v15
	v_div_fmas_f32 v10, v10, v30, v26
	v_cmp_class_f32_e64 vcc_lo, v8, 0x1f8
	v_div_fixup_f32 v11, v11, v21, v22
	v_cndmask_b32_e64 v8, v31, v27, s1
	v_div_fixup_f32 v10, v10, v23, v17
	v_cmp_lt_f32_e64 s1, 0, v16
	v_cndmask_b32_e32 v12, 0x7fc00000, v12, vcc_lo
	v_cndmask_b32_e32 v9, 0x7fc00000, v9, vcc_lo
	v_cmp_class_f32_e64 vcc_lo, v5, 0x260
	v_mul_f32_e32 v10, v13, v10
	v_cndmask_b32_e64 v8, v8, v33, s1
	v_mul_f32_e32 v10, v10, v12
	v_mul_f32_e32 v13, 0x37800000, v8
	v_fmac_f32_e32 v10, v11, v9
	v_cndmask_b32_e64 v8, v8, v13, s0
	v_cndmask_b32_e32 v5, v8, v5, vcc_lo
	v_mul_f32_e32 v8, 0x3f4c422a, v10
	v_div_scale_f32 v9, null, v5, v5, v8
	v_rcp_f32_e32 v10, v9
	v_fma_f32 v11, -v9, v10, 1.0
	v_fmac_f32_e32 v10, v11, v10
	v_div_scale_f32 v11, vcc_lo, v8, v5, v8
	v_mul_f32_e32 v12, v11, v10
	v_fma_f32 v13, -v9, v12, v11
	v_fmac_f32_e32 v12, v13, v10
	v_fma_f32 v9, -v9, v12, v11
	v_div_fmas_f32 v9, v9, v10, v12
	v_div_fixup_f32 v8, v9, v5, v8
.LBB19_136:
	s_or_b32 exec_lo, exec_lo, s3
	global_store_dword v0, v4, s[4:5]
	global_store_dword v1, v6, s[4:5]
	;; [unrolled: 1-line block ×4, first 2 shown]
	s_endpgm
.LBB19_137:
	v_mov_b32_e32 v0, 0
	v_mov_b32_e32 v2, 0
	s_branch .LBB19_143
.LBB19_138:
	v_mov_b32_e32 v0, 0
	v_mov_b32_e32 v2, 0
	s_branch .LBB19_175
.LBB19_139:
	v_mov_b32_e32 v0, 0
	v_mov_b32_e32 v2, 0
	;; [unrolled: 1-line block ×3, first 2 shown]
	s_mov_b32 s31, 0
.LBB19_140:
	s_and_b32 s33, s33, 3
	s_cmp_eq_u32 s33, 0
	s_cbranch_scc1 .LBB19_143
; %bb.141:
	s_lshl_b32 s0, s31, 3
	s_mul_i32 s2, s31, 12
	s_add_u32 s0, s16, s0
	s_addc_u32 s1, s17, 0
	s_add_u32 s0, s0, 0xc4
	s_addc_u32 s1, s1, 0
	;; [unrolled: 2-line block ×3, first 2 shown]
	.p2align	6
.LBB19_142:                             ; =>This Inner Loop Header: Depth=1
	s_clause 0x1
	s_load_dwordx2 s[34:35], s[2:3], 0x4
	s_load_dword s31, s[2:3], 0xc
	s_load_dwordx2 s[36:37], s[0:1], 0x0
	s_add_u32 s2, s2, 12
	s_addc_u32 s3, s3, 0
	s_add_u32 s0, s0, 8
	s_addc_u32 s1, s1, 0
	s_add_i32 s33, s33, -1
	s_cmp_lg_u32 s33, 0
	s_waitcnt lgkmcnt(0)
	v_mul_hi_u32 v3, s35, v1
	v_add_nc_u32_e32 v3, v1, v3
	v_lshrrev_b32_e32 v5, s31, v3
	v_mul_lo_u32 v3, v5, s34
	v_sub_nc_u32_e32 v3, v1, v3
	v_mad_u64_u32 v[0:1], null, v3, s36, v[0:1]
	v_mad_u64_u32 v[2:3], null, v3, s37, v[2:3]
	v_mov_b32_e32 v1, v5
	s_cbranch_scc1 .LBB19_142
.LBB19_143:
	s_cbranch_execnz .LBB19_146
.LBB19_144:
	s_waitcnt lgkmcnt(0)
	v_mul_hi_u32 v0, s13, v4
	s_andn2_b32 vcc_lo, exec_lo, s26
	v_add_nc_u32_e32 v0, v4, v0
	v_lshrrev_b32_e32 v1, s14, v0
	v_mul_lo_u32 v0, v1, s12
	v_sub_nc_u32_e32 v2, v4, v0
	v_mul_lo_u32 v0, v2, s8
	v_mul_lo_u32 v2, v2, s9
	s_cbranch_vccnz .LBB19_146
; %bb.145:
	v_mul_hi_u32 v3, s18, v1
	v_add_nc_u32_e32 v3, v1, v3
	v_lshrrev_b32_e32 v3, s19, v3
	v_mul_lo_u32 v3, v3, s15
	v_sub_nc_u32_e32 v3, v1, v3
	v_mad_u64_u32 v[0:1], null, v3, s10, v[0:1]
	v_mad_u64_u32 v[2:3], null, v3, s11, v[2:3]
.LBB19_146:
	s_waitcnt lgkmcnt(0)
	global_load_dword v1, v2, s[6:7]
                                        ; implicit-def: $vgpr2
	s_mov_b32 s0, exec_lo
	s_waitcnt vmcnt(0)
	v_cmpx_ge_f32_e32 0x40a00000, v1
	s_xor_b32 s3, exec_lo, s0
	s_cbranch_execz .LBB19_152
; %bb.147:
	v_mov_b32_e32 v2, 0xff800000
	s_mov_b32 s31, exec_lo
	v_cmpx_neq_f32_e32 0, v1
	s_cbranch_execz .LBB19_151
; %bb.148:
	v_mov_b32_e32 v2, 0x7fc00000
	s_mov_b32 s33, exec_lo
	v_cmpx_nge_f32_e32 0, v1
	s_cbranch_execz .LBB19_150
; %bb.149:
	v_mul_f32_e32 v2, v1, v1
	v_cmp_gt_f32_e64 s0, 0x800000, v1
	v_div_scale_f32 v12, null, v1, v1, -1.0
	v_div_scale_f32 v21, s2, -1.0, v1, -1.0
	v_fmaak_f32 v3, 0, v2, 0x4414934d
	v_fmaak_f32 v5, 0, v2, 0x441b3589
	;; [unrolled: 1-line block ×4, first 2 shown]
	v_cndmask_b32_e64 v11, 0, 32, s0
	v_fmaak_f32 v3, v2, v3, 0x48660b06
	v_fmaak_f32 v5, v2, v5, 0x487af6d0
	v_fmaak_f32 v6, v2, v6, 0xd316b96b
	v_fmaak_f32 v7, v2, v7, 0x52d295d0
	v_rcp_f32_e32 v13, v12
	v_fmaak_f32 v3, v2, v3, 0x4c8c277d
	v_fmaak_f32 v5, v2, v5, 0x4c9f4aa7
	;; [unrolled: 1-line block ×4, first 2 shown]
	v_ldexp_f32 v11, v1, v11
	v_fmaak_f32 v3, v2, v3, 0x508bc61d
	v_fmaak_f32 v5, v2, v5, 0x50a509fc
	v_fmaak_f32 v6, v2, v6, 0xd9e700d2
	v_fmaak_f32 v7, v2, v7, 0x59515a15
	v_log_f32_e32 v11, v11
	v_fmaak_f32 v3, v2, v3, 0x5461faf8
	v_fmaak_f32 v5, v2, v5, 0x548a37dc
	;; [unrolled: 1-line block ×3, first 2 shown]
	v_fma_f32 v18, -v12, v13, 1.0
	v_fmaak_f32 v3, v2, v3, 0x580d1937
	v_fmaak_f32 v5, v2, v5, 0x58325852
	;; [unrolled: 1-line block ×3, first 2 shown]
	v_fmac_f32_e32 v13, v18, v13
	v_mul_f32_e32 v22, 0x3f317217, v11
	v_fmaak_f32 v3, v2, v3, 0x5b741f1e
	v_fmaak_f32 v5, v2, v5, 0x5b9f0600
	v_fma_f32 v18, 0x3f317217, v11, -v22
	v_fmaak_f32 v3, v2, v3, 0x5e5c878d
	v_fmaak_f32 v2, v2, v5, 0x5e93bcac
	v_div_scale_f32 v5, null, v3, v3, v6
	v_div_scale_f32 v8, null, v2, v2, v7
	v_div_scale_f32 v16, vcc_lo, v6, v3, v6
	v_rcp_f32_e32 v9, v5
	v_rcp_f32_e32 v10, v8
	v_div_scale_f32 v17, s1, v7, v2, v7
	v_fma_f32 v14, -v5, v9, 1.0
	v_fma_f32 v15, -v8, v10, 1.0
	v_fmac_f32_e32 v9, v14, v9
	v_fmac_f32_e32 v10, v15, v10
	v_mul_f32_e32 v14, v16, v9
	v_mul_f32_e32 v15, v17, v10
	v_fma_f32 v19, -v5, v14, v16
	v_fma_f32 v20, -v8, v15, v17
	v_fmac_f32_e32 v14, v19, v9
	v_fmac_f32_e32 v15, v20, v10
	v_fma_f32 v5, -v5, v14, v16
	v_mul_f32_e32 v16, v21, v13
	v_fma_f32 v8, -v8, v15, v17
	v_div_fmas_f32 v5, v5, v9, v14
	s_mov_b32 vcc_lo, s1
	v_fma_f32 v9, -v12, v16, v21
	v_div_fmas_f32 v8, v8, v10, v15
	v_fmamk_f32 v10, v11, 0x3377d1cf, v18
	v_cmp_gt_f32_e64 vcc_lo, 0x7f800000, |v11|
	v_div_fixup_f32 v3, v5, v3, v6
	v_fmac_f32_e32 v16, v9, v13
	v_div_fixup_f32 v2, v8, v2, v7
	v_fmac_f32_e32 v10, 0x3f317217, v11
	v_fmaak_f32 v7, v1, v1, 0xc16ae95a
	v_fmaak_f32 v8, v1, v1, 0xc244dfb3
	v_fma_f32 v12, -v12, v16, v21
	v_mul_f32_e32 v2, v1, v2
	v_cndmask_b32_e32 v10, v11, v10, vcc_lo
	s_mov_b32 vcc_lo, s2
	v_cndmask_b32_e64 v9, 0, 0x41b17218, s0
	v_mul_f32_e32 v2, v7, v2
	v_div_fmas_f32 v7, v12, v13, v16
	v_sub_f32_e32 v9, v10, v9
	v_mul_f32_e32 v2, v8, v2
	v_div_fixup_f32 v7, v7, v1, -1.0
	v_fmac_f32_e32 v7, v9, v2
	v_mul_f32_e32 v2, 0x3f22f983, v7
	v_fmac_f32_e32 v2, v1, v3
.LBB19_150:
	s_or_b32 exec_lo, exec_lo, s33
.LBB19_151:
	s_or_b32 exec_lo, exec_lo, s31
                                        ; implicit-def: $vgpr1
.LBB19_152:
	s_andn2_saveexec_b32 s3, s3
	s_cbranch_execz .LBB19_162
; %bb.153:
	v_add_f32_e32 v2, 0xc016cbe4, v1
                                        ; implicit-def: $vgpr6
                                        ; implicit-def: $vgpr5
	v_and_b32_e32 v3, 0x7fffffff, v2
	v_cmp_ngt_f32_e64 s2, 0x48000000, |v2|
	s_and_saveexec_b32 s0, s2
	s_xor_b32 s31, exec_lo, s0
	s_cbranch_execz .LBB19_155
; %bb.154:
	s_mov_b32 s0, 0x7fffff
	v_mov_b32_e32 v7, 0
	v_and_or_b32 v14, v3, s0, 0x800000
	v_lshrrev_b32_e32 v12, 23, v3
	v_mad_u64_u32 v[5:6], null, 0xfe5163ab, v14, 0
	v_add_nc_u32_e32 v13, 0xffffff88, v12
	v_cmp_lt_u32_e32 vcc_lo, 63, v13
	v_mad_u64_u32 v[8:9], null, 0x3c439041, v14, v[6:7]
	v_cndmask_b32_e64 v15, 0, 0xffffffc0, vcc_lo
	v_mov_b32_e32 v6, v9
	v_add_nc_u32_e32 v15, v15, v13
	v_mad_u64_u32 v[9:10], null, 0xdb629599, v14, v[6:7]
	v_cmp_lt_u32_e64 s0, 31, v15
	v_cndmask_b32_e64 v16, 0, 0xffffffe0, s0
	v_mov_b32_e32 v6, v10
	v_cndmask_b32_e32 v5, v9, v5, vcc_lo
	v_mad_u64_u32 v[10:11], null, 0xf534ddc0, v14, v[6:7]
	v_mov_b32_e32 v6, v11
	v_cndmask_b32_e32 v8, v10, v8, vcc_lo
	v_mad_u64_u32 v[11:12], null, 0xfc2757d1, v14, v[6:7]
	v_cndmask_b32_e64 v5, v8, v5, s0
	v_mov_b32_e32 v6, v12
	v_mad_u64_u32 v[12:13], null, 0x4e441529, v14, v[6:7]
	v_mov_b32_e32 v6, v13
	v_add_nc_u32_e32 v13, v16, v15
	v_cndmask_b32_e32 v15, v12, v10, vcc_lo
	v_mad_u64_u32 v[6:7], null, 0xa2f9836e, v14, v[6:7]
	v_cmp_lt_u32_e64 s1, 31, v13
	v_cndmask_b32_e64 v14, 0, 0xffffffe0, s1
	v_cndmask_b32_e32 v6, v6, v11, vcc_lo
	v_cndmask_b32_e32 v7, v7, v12, vcc_lo
	;; [unrolled: 1-line block ×3, first 2 shown]
	v_add_nc_u32_e32 v12, v14, v13
	v_cndmask_b32_e64 v10, v6, v15, s0
	v_cndmask_b32_e64 v6, v7, v6, s0
	;; [unrolled: 1-line block ×4, first 2 shown]
	v_sub_nc_u32_e32 v13, 32, v12
	v_cmp_eq_u32_e32 vcc_lo, 0, v12
	v_cndmask_b32_e64 v6, v6, v10, s1
	v_cndmask_b32_e64 v10, v10, v7, s1
	;; [unrolled: 1-line block ×4, first 2 shown]
	v_alignbit_b32 v14, v6, v10, v13
	v_alignbit_b32 v9, v10, v7, v13
	;; [unrolled: 1-line block ×3, first 2 shown]
	v_cndmask_b32_e32 v6, v14, v6, vcc_lo
	v_cndmask_b32_e32 v8, v9, v10, vcc_lo
	;; [unrolled: 1-line block ×3, first 2 shown]
	v_bfe_u32 v9, v6, 29, 1
	v_alignbit_b32 v10, v6, v8, 30
	v_alignbit_b32 v8, v8, v7, 30
	;; [unrolled: 1-line block ×3, first 2 shown]
	v_sub_nc_u32_e32 v11, 0, v9
	v_xor_b32_e32 v10, v10, v11
	v_xor_b32_e32 v7, v8, v11
	;; [unrolled: 1-line block ×3, first 2 shown]
	v_lshrrev_b32_e32 v11, 29, v6
	v_lshrrev_b32_e32 v6, 30, v6
	v_ffbh_u32_e32 v12, v10
	v_add_nc_u32_e32 v6, v9, v6
	v_min_u32_e32 v12, 32, v12
	v_sub_nc_u32_e32 v8, 31, v12
	v_lshlrev_b32_e32 v13, 23, v12
	v_alignbit_b32 v10, v10, v7, v8
	v_alignbit_b32 v5, v7, v5, v8
	v_lshlrev_b32_e32 v7, 31, v11
	v_alignbit_b32 v8, v10, v5, 9
	v_or_b32_e32 v11, 0.5, v7
	v_lshrrev_b32_e32 v10, 9, v10
	v_or_b32_e32 v7, 0x33000000, v7
	v_ffbh_u32_e32 v14, v8
	v_sub_nc_u32_e32 v11, v11, v13
	v_min_u32_e32 v13, 32, v14
	v_or_b32_e32 v10, v10, v11
	v_not_b32_e32 v11, v13
	v_mul_f32_e32 v14, 0x3fc90fda, v10
	v_add_lshl_u32 v12, v13, v12, 23
	v_alignbit_b32 v5, v8, v5, v11
	v_fma_f32 v8, 0x3fc90fda, v10, -v14
	v_sub_nc_u32_e32 v7, v7, v12
	v_lshrrev_b32_e32 v5, 9, v5
	v_fmamk_f32 v8, v10, 0x33a22168, v8
	v_or_b32_e32 v5, v7, v5
	v_fmac_f32_e32 v8, 0x3fc90fda, v5
	v_add_f32_e32 v5, v14, v8
	s_andn2_saveexec_b32 s0, s31
	s_branch .LBB19_156
.LBB19_155:
	s_andn2_saveexec_b32 s0, s31
.LBB19_156:
	v_mul_f32_e64 v5, 0x3f22f983, |v2|
	v_rndne_f32_e32 v6, v5
	v_fma_f32 v5, 0xbfc90fda, v6, |v2|
	v_fmamk_f32 v5, v6, 0xb3a22168, v5
	v_fmamk_f32 v5, v6, 0xa7c234c4, v5
	v_cvt_i32_f32_e32 v6, v6
; %bb.157:
	s_or_b32 exec_lo, exec_lo, s0
                                        ; implicit-def: $vgpr8
                                        ; implicit-def: $vgpr7
	s_and_saveexec_b32 s0, s2
	s_xor_b32 s2, exec_lo, s0
	s_cbranch_execz .LBB19_159
; %bb.158:
	s_mov_b32 s0, 0x7fffff
	v_mov_b32_e32 v9, 0
	v_and_or_b32 v16, v3, s0, 0x800000
	v_lshrrev_b32_e32 v14, 23, v3
	v_mad_u64_u32 v[7:8], null, 0xfe5163ab, v16, 0
	v_add_nc_u32_e32 v15, 0xffffff88, v14
	v_cmp_lt_u32_e32 vcc_lo, 63, v15
	v_mad_u64_u32 v[10:11], null, 0x3c439041, v16, v[8:9]
	v_cndmask_b32_e64 v17, 0, 0xffffffc0, vcc_lo
	v_mov_b32_e32 v8, v11
	v_add_nc_u32_e32 v17, v17, v15
	v_mad_u64_u32 v[11:12], null, 0xdb629599, v16, v[8:9]
	v_cmp_lt_u32_e64 s0, 31, v17
	v_cndmask_b32_e64 v18, 0, 0xffffffe0, s0
	v_mov_b32_e32 v8, v12
	v_cndmask_b32_e32 v7, v11, v7, vcc_lo
	v_mad_u64_u32 v[12:13], null, 0xf534ddc0, v16, v[8:9]
	v_mov_b32_e32 v8, v13
	v_cndmask_b32_e32 v10, v12, v10, vcc_lo
	v_mad_u64_u32 v[13:14], null, 0xfc2757d1, v16, v[8:9]
	v_cndmask_b32_e64 v7, v10, v7, s0
	v_mov_b32_e32 v8, v14
	v_mad_u64_u32 v[14:15], null, 0x4e441529, v16, v[8:9]
	v_mov_b32_e32 v8, v15
	v_add_nc_u32_e32 v15, v18, v17
	v_cndmask_b32_e32 v17, v14, v12, vcc_lo
	v_mad_u64_u32 v[8:9], null, 0xa2f9836e, v16, v[8:9]
	v_cmp_lt_u32_e64 s1, 31, v15
	v_cndmask_b32_e64 v16, 0, 0xffffffe0, s1
	v_cndmask_b32_e32 v8, v8, v13, vcc_lo
	v_cndmask_b32_e32 v9, v9, v14, vcc_lo
	;; [unrolled: 1-line block ×3, first 2 shown]
	v_add_nc_u32_e32 v14, v16, v15
	v_cndmask_b32_e64 v12, v8, v17, s0
	v_cndmask_b32_e64 v8, v9, v8, s0
	;; [unrolled: 1-line block ×4, first 2 shown]
	v_sub_nc_u32_e32 v15, 32, v14
	v_cmp_eq_u32_e32 vcc_lo, 0, v14
	v_cndmask_b32_e64 v8, v8, v12, s1
	v_cndmask_b32_e64 v12, v12, v9, s1
	;; [unrolled: 1-line block ×4, first 2 shown]
	v_alignbit_b32 v16, v8, v12, v15
	v_alignbit_b32 v11, v12, v9, v15
	;; [unrolled: 1-line block ×3, first 2 shown]
	v_cndmask_b32_e32 v8, v16, v8, vcc_lo
	v_cndmask_b32_e32 v10, v11, v12, vcc_lo
	;; [unrolled: 1-line block ×3, first 2 shown]
	v_bfe_u32 v11, v8, 29, 1
	v_alignbit_b32 v12, v8, v10, 30
	v_alignbit_b32 v10, v10, v9, 30
	;; [unrolled: 1-line block ×3, first 2 shown]
	v_sub_nc_u32_e32 v13, 0, v11
	v_xor_b32_e32 v12, v12, v13
	v_xor_b32_e32 v9, v10, v13
	;; [unrolled: 1-line block ×3, first 2 shown]
	v_lshrrev_b32_e32 v13, 29, v8
	v_lshrrev_b32_e32 v8, 30, v8
	v_ffbh_u32_e32 v14, v12
	v_add_nc_u32_e32 v8, v11, v8
	v_min_u32_e32 v14, 32, v14
	v_sub_nc_u32_e32 v10, 31, v14
	v_lshlrev_b32_e32 v15, 23, v14
	v_alignbit_b32 v12, v12, v9, v10
	v_alignbit_b32 v7, v9, v7, v10
	v_lshlrev_b32_e32 v9, 31, v13
	v_alignbit_b32 v10, v12, v7, 9
	v_or_b32_e32 v13, 0.5, v9
	v_lshrrev_b32_e32 v12, 9, v12
	v_or_b32_e32 v9, 0x33000000, v9
	v_ffbh_u32_e32 v16, v10
	v_sub_nc_u32_e32 v13, v13, v15
	v_min_u32_e32 v15, 32, v16
	v_or_b32_e32 v12, v12, v13
	v_not_b32_e32 v13, v15
	v_mul_f32_e32 v16, 0x3fc90fda, v12
	v_add_lshl_u32 v14, v15, v14, 23
	v_alignbit_b32 v7, v10, v7, v13
	v_fma_f32 v10, 0x3fc90fda, v12, -v16
	v_sub_nc_u32_e32 v9, v9, v14
	v_lshrrev_b32_e32 v7, 9, v7
	v_fmamk_f32 v10, v12, 0x33a22168, v10
	v_or_b32_e32 v7, v9, v7
	v_fmac_f32_e32 v10, 0x3fc90fda, v7
	v_add_f32_e32 v7, v16, v10
	s_andn2_saveexec_b32 s0, s2
	s_cbranch_execnz .LBB19_160
	s_branch .LBB19_161
.LBB19_159:
	s_andn2_saveexec_b32 s0, s2
.LBB19_160:
	v_mul_f32_e64 v7, 0x3f22f983, |v2|
	v_rndne_f32_e32 v8, v7
	v_fma_f32 v7, 0xbfc90fda, v8, |v2|
	v_fmamk_f32 v7, v8, 0xb3a22168, v7
	v_fmamk_f32 v7, v8, 0xa7c234c4, v7
	v_cvt_i32_f32_e32 v8, v8
.LBB19_161:
	s_or_b32 exec_lo, exec_lo, s0
	v_div_scale_f32 v9, null, v1, v1, 0x40a00000
	v_div_scale_f32 v12, vcc_lo, 0x40a00000, v1, 0x40a00000
	s_mov_b32 s0, 0xb94c1982
	v_rcp_f32_e32 v10, v9
	v_mul_f32_e32 v19, 0x4f800000, v1
	s_mov_b32 s1, 0x37d75334
	v_and_b32_e32 v14, 1, v8
	v_xor_b32_e32 v3, v3, v2
	v_lshlrev_b32_e32 v8, 30, v8
	v_and_b32_e32 v8, 0x80000000, v8
	v_fma_f32 v11, -v9, v10, 1.0
	v_fmac_f32_e32 v10, v11, v10
	v_mul_f32_e32 v11, v12, v10
	v_fma_f32 v13, -v9, v11, v12
	v_fmac_f32_e32 v11, v13, v10
	v_mul_f32_e32 v13, v7, v7
	v_fma_f32 v9, -v9, v11, v12
	v_fmaak_f32 v22, s0, v13, 0x3c0881c4
	v_fmaak_f32 v23, s1, v13, 0xbab64f3b
	v_div_fmas_f32 v9, v9, v10, v11
	v_mul_f32_e32 v10, v5, v5
	v_fmaak_f32 v23, v13, v23, 0x3d2aabf7
	v_and_b32_e32 v11, 1, v6
	v_fmaak_f32 v22, v13, v22, 0xbe2aaa9d
	v_div_fixup_f32 v9, v9, v1, 0x40a00000
	v_fmaak_f32 v20, s0, v10, 0x3c0881c4
	v_cmp_gt_f32_e64 s0, 0xf800000, v1
	v_fmaak_f32 v21, s1, v10, 0xbab64f3b
	v_fmaak_f32 v23, v13, v23, 0xbf000004
	v_mul_f32_e32 v12, v9, v9
	v_fmaak_f32 v20, v10, v20, 0xbe2aaa9d
	v_cndmask_b32_e64 v1, v1, v19, s0
	v_fmaak_f32 v21, v10, v21, 0x3d2aabf7
	v_mul_f32_e32 v22, v13, v22
	v_fmaak_f32 v15, 0, v12, 0x3d513fd3
	v_fmaak_f32 v16, 0, v12, 0x3a15c4d9
	;; [unrolled: 1-line block ×4, first 2 shown]
	v_mul_f32_e32 v20, v10, v20
	v_fmaak_f32 v15, v12, v15, 0x409f6dae
	v_fmaak_f32 v16, v12, v16, 0x3d8cfeeb
	;; [unrolled: 1-line block ×9, first 2 shown]
	v_fmac_f32_e32 v5, v5, v20
	v_fmaak_f32 v15, v12, v15, 0x43b763ca
	v_fmaak_f32 v16, v12, v16, 0x40a25d18
	;; [unrolled: 1-line block ×4, first 2 shown]
	v_sqrt_f32_e32 v26, v1
	v_fmaak_f32 v15, v12, v15, 0x4431b6ce
	v_fmaak_f32 v16, v12, v16, 0x410665cf
	v_fmaak_f32 v17, v12, v17, 0x4106c8e4
	v_fmaak_f32 v18, v12, v18, 0x45f9e855
	v_fma_f32 v10, v10, v21, 1.0
	v_fmaak_f32 v15, v12, v15, 0x44155f56
	v_fmaak_f32 v16, v12, v16, 0x40a6b6ea
	v_fmaak_f32 v17, v12, v17, 0x40a6dd51
	v_fmaak_f32 v18, v12, v18, 0x4530a316
	v_fma_f32 v13, v13, v23, 1.0
	v_fmaak_f32 v15, v12, v15, 0x4353b052
	v_fma_f32 v16, v12, v16, 1.0
	v_fma_f32 v17, v12, v17, 1.0
	v_fmaak_f32 v18, v12, v18, 0x43a80bfb
	v_cmp_eq_u32_e64 s2, 0, v11
	v_fmaak_f32 v12, v12, v15, 0x41c9a7fa
	v_lshlrev_b32_e32 v6, 30, v6
	v_div_scale_f32 v15, null, v16, v16, v17
	v_div_scale_f32 v29, vcc_lo, v17, v16, v17
	v_div_scale_f32 v24, null, v18, v18, v12
	v_rcp_f32_e32 v19, v15
	v_fmac_f32_e32 v7, v7, v22
	v_cndmask_b32_e64 v5, v10, v5, s2
	v_rcp_f32_e32 v25, v24
	v_cmp_eq_u32_e64 s2, 0, v14
	v_and_b32_e32 v6, 0x80000000, v6
	v_add_nc_u32_e32 v22, -1, v26
	v_cndmask_b32_e64 v7, -v7, v13, s2
	v_fma_f32 v27, -v15, v19, 1.0
	v_fma_f32 v10, -v22, v26, v1
	v_xor3_b32 v3, v3, v6, v5
	v_fma_f32 v28, -v24, v25, 1.0
	v_xor_b32_e32 v7, v8, v7
	v_fmac_f32_e32 v19, v27, v19
	v_div_scale_f32 v27, s1, v12, v18, v12
	v_fmac_f32_e32 v25, v28, v25
	v_add_nc_u32_e32 v28, 1, v26
	v_mul_f32_e32 v20, v29, v19
	v_mul_f32_e32 v21, v27, v25
	v_fma_f32 v11, -v28, v26, v1
	v_fma_f32 v23, -v15, v20, v29
	;; [unrolled: 1-line block ×3, first 2 shown]
	v_fmac_f32_e32 v20, v23, v19
	v_fmac_f32_e32 v21, v30, v25
	v_fma_f32 v13, -v15, v20, v29
	v_fma_f32 v5, -v24, v21, v27
	v_div_fmas_f32 v6, v13, v19, v20
	s_mov_b32 vcc_lo, s1
	v_cmp_ge_f32_e64 s1, 0, v10
	v_div_fmas_f32 v5, v5, v25, v21
	v_cmp_class_f32_e64 vcc_lo, v2, 0x1f8
	v_div_fixup_f32 v6, v6, v16, v17
	v_cndmask_b32_e64 v2, v26, v22, s1
	v_div_fixup_f32 v5, v5, v18, v12
	v_cmp_lt_f32_e64 s1, 0, v11
	v_cndmask_b32_e32 v7, 0x7fc00000, v7, vcc_lo
	v_cndmask_b32_e32 v3, 0x7fc00000, v3, vcc_lo
	v_cmp_class_f32_e64 vcc_lo, v1, 0x260
	v_mul_f32_e32 v5, v9, v5
	v_cndmask_b32_e64 v2, v2, v28, s1
	v_mul_f32_e32 v5, v5, v7
	v_mul_f32_e32 v8, 0x37800000, v2
	v_fmac_f32_e32 v5, v6, v3
	v_cndmask_b32_e64 v2, v2, v8, s0
	v_cndmask_b32_e32 v1, v2, v1, vcc_lo
	v_mul_f32_e32 v2, 0x3f4c422a, v5
	v_div_scale_f32 v3, null, v1, v1, v2
	v_rcp_f32_e32 v5, v3
	v_fma_f32 v6, -v3, v5, 1.0
	v_fmac_f32_e32 v5, v6, v5
	v_div_scale_f32 v6, vcc_lo, v2, v1, v2
	v_mul_f32_e32 v7, v6, v5
	v_fma_f32 v8, -v3, v7, v6
	v_fmac_f32_e32 v7, v8, v5
	v_fma_f32 v3, -v3, v7, v6
	v_div_fmas_f32 v3, v3, v5, v7
	v_div_fixup_f32 v2, v3, v1, v2
.LBB19_162:
	s_or_b32 exec_lo, exec_lo, s3
	v_add_nc_u32_e32 v4, 0x80, v4
	global_store_dword v0, v2, s[4:5]
	s_or_b32 exec_lo, exec_lo, s30
	s_mov_b32 s30, exec_lo
	v_cmpx_gt_i32_e64 s27, v4
	s_cbranch_execnz .LBB19_15
.LBB19_163:
	s_or_b32 exec_lo, exec_lo, s30
	s_mov_b32 s30, exec_lo
	v_cmpx_gt_i32_e64 s27, v4
	s_cbranch_execz .LBB19_195
.LBB19_164:
	s_andn2_b32 vcc_lo, exec_lo, s24
	s_cbranch_vccnz .LBB19_169
; %bb.165:
	s_andn2_b32 vcc_lo, exec_lo, s29
	s_cbranch_vccnz .LBB19_170
; %bb.166:
	s_add_i32 s33, s28, 1
	s_cmp_eq_u32 s23, 2
	s_cbranch_scc1 .LBB19_198
; %bb.167:
	v_mov_b32_e32 v2, 0
	v_mov_b32_e32 v0, 0
	;; [unrolled: 1-line block ×3, first 2 shown]
	s_and_b32 s31, s33, 28
	s_mov_b32 s34, 0
	s_mov_b64 s[0:1], s[16:17]
	s_mov_b64 s[2:3], s[20:21]
.LBB19_168:                             ; =>This Inner Loop Header: Depth=1
	s_clause 0x1
	s_load_dwordx8 s[36:43], s[0:1], 0x4
	s_load_dwordx4 s[52:55], s[0:1], 0x24
	s_load_dwordx8 s[44:51], s[2:3], 0x0
	s_add_u32 s0, s0, 48
	s_addc_u32 s1, s1, 0
	s_add_i32 s34, s34, 4
	s_add_u32 s2, s2, 32
	s_addc_u32 s3, s3, 0
	s_cmp_eq_u32 s31, s34
	s_waitcnt lgkmcnt(0)
	v_mul_hi_u32 v3, s37, v1
	v_add_nc_u32_e32 v3, v1, v3
	v_lshrrev_b32_e32 v3, s38, v3
	v_mul_hi_u32 v5, s40, v3
	v_mul_lo_u32 v7, v3, s36
	v_add_nc_u32_e32 v5, v3, v5
	v_sub_nc_u32_e32 v1, v1, v7
	v_lshrrev_b32_e32 v5, s41, v5
	v_mul_lo_u32 v7, v1, s44
	v_mul_lo_u32 v9, v1, s45
	v_mul_hi_u32 v6, s43, v5
	v_add_nc_u32_e32 v6, v5, v6
	v_lshrrev_b32_e32 v6, s52, v6
	v_mul_hi_u32 v8, s54, v6
	v_mul_lo_u32 v10, v6, s42
	v_add_nc_u32_e32 v1, v6, v8
	v_mul_lo_u32 v8, v5, s39
	v_sub_nc_u32_e32 v5, v5, v10
	v_lshrrev_b32_e32 v1, s55, v1
	v_mul_lo_u32 v10, v5, s48
	v_mul_lo_u32 v5, v5, s49
	v_sub_nc_u32_e32 v3, v3, v8
	v_mul_lo_u32 v11, v1, s53
	v_mul_lo_u32 v8, v3, s46
	;; [unrolled: 1-line block ×3, first 2 shown]
	v_sub_nc_u32_e32 v6, v6, v11
	v_add3_u32 v0, v7, v0, v8
	v_mul_lo_u32 v11, v6, s50
	v_mul_lo_u32 v6, v6, s51
	v_add3_u32 v2, v9, v2, v3
	v_add3_u32 v0, v10, v0, v11
	;; [unrolled: 1-line block ×3, first 2 shown]
	s_cbranch_scc0 .LBB19_168
	s_branch .LBB19_199
.LBB19_169:
                                        ; implicit-def: $vgpr0
                                        ; implicit-def: $vgpr2
	s_branch .LBB19_203
.LBB19_170:
	v_mov_b32_e32 v0, 0
	v_mov_b32_e32 v2, 0
	s_branch .LBB19_202
.LBB19_171:
	v_mov_b32_e32 v0, 0
	v_mov_b32_e32 v2, 0
	;; [unrolled: 1-line block ×3, first 2 shown]
	s_mov_b32 s31, 0
.LBB19_172:
	s_and_b32 s33, s33, 3
	s_cmp_eq_u32 s33, 0
	s_cbranch_scc1 .LBB19_175
; %bb.173:
	s_lshl_b32 s0, s31, 3
	s_mul_i32 s2, s31, 12
	s_add_u32 s0, s16, s0
	s_addc_u32 s1, s17, 0
	s_add_u32 s0, s0, 0xc4
	s_addc_u32 s1, s1, 0
	;; [unrolled: 2-line block ×3, first 2 shown]
	.p2align	6
.LBB19_174:                             ; =>This Inner Loop Header: Depth=1
	s_clause 0x1
	s_load_dwordx2 s[34:35], s[2:3], 0x4
	s_load_dword s31, s[2:3], 0xc
	s_load_dwordx2 s[36:37], s[0:1], 0x0
	s_add_u32 s2, s2, 12
	s_addc_u32 s3, s3, 0
	s_add_u32 s0, s0, 8
	s_addc_u32 s1, s1, 0
	s_add_i32 s33, s33, -1
	s_cmp_lg_u32 s33, 0
	s_waitcnt lgkmcnt(0)
	v_mul_hi_u32 v3, s35, v1
	v_add_nc_u32_e32 v3, v1, v3
	v_lshrrev_b32_e32 v5, s31, v3
	v_mul_lo_u32 v3, v5, s34
	v_sub_nc_u32_e32 v3, v1, v3
	v_mad_u64_u32 v[0:1], null, v3, s36, v[0:1]
	v_mad_u64_u32 v[2:3], null, v3, s37, v[2:3]
	v_mov_b32_e32 v1, v5
	s_cbranch_scc1 .LBB19_174
.LBB19_175:
	s_cbranch_execnz .LBB19_178
.LBB19_176:
	s_waitcnt lgkmcnt(0)
	v_mul_hi_u32 v0, s13, v4
	s_andn2_b32 vcc_lo, exec_lo, s26
	v_add_nc_u32_e32 v0, v4, v0
	v_lshrrev_b32_e32 v1, s14, v0
	v_mul_lo_u32 v0, v1, s12
	v_sub_nc_u32_e32 v2, v4, v0
	v_mul_lo_u32 v0, v2, s8
	v_mul_lo_u32 v2, v2, s9
	s_cbranch_vccnz .LBB19_178
; %bb.177:
	v_mul_hi_u32 v3, s18, v1
	v_add_nc_u32_e32 v3, v1, v3
	v_lshrrev_b32_e32 v3, s19, v3
	v_mul_lo_u32 v3, v3, s15
	v_sub_nc_u32_e32 v3, v1, v3
	v_mad_u64_u32 v[0:1], null, v3, s10, v[0:1]
	v_mad_u64_u32 v[2:3], null, v3, s11, v[2:3]
.LBB19_178:
	s_waitcnt lgkmcnt(0)
	global_load_dword v1, v2, s[6:7]
                                        ; implicit-def: $vgpr2
	s_mov_b32 s0, exec_lo
	s_waitcnt vmcnt(0)
	v_cmpx_ge_f32_e32 0x40a00000, v1
	s_xor_b32 s3, exec_lo, s0
	s_cbranch_execz .LBB19_184
; %bb.179:
	v_mov_b32_e32 v2, 0xff800000
	s_mov_b32 s31, exec_lo
	v_cmpx_neq_f32_e32 0, v1
	s_cbranch_execz .LBB19_183
; %bb.180:
	v_mov_b32_e32 v2, 0x7fc00000
	s_mov_b32 s33, exec_lo
	v_cmpx_nge_f32_e32 0, v1
	s_cbranch_execz .LBB19_182
; %bb.181:
	v_mul_f32_e32 v2, v1, v1
	v_cmp_gt_f32_e64 s0, 0x800000, v1
	v_div_scale_f32 v12, null, v1, v1, -1.0
	v_div_scale_f32 v21, s2, -1.0, v1, -1.0
	v_fmaak_f32 v3, 0, v2, 0x4414934d
	v_fmaak_f32 v5, 0, v2, 0x441b3589
	;; [unrolled: 1-line block ×4, first 2 shown]
	v_cndmask_b32_e64 v11, 0, 32, s0
	v_fmaak_f32 v3, v2, v3, 0x48660b06
	v_fmaak_f32 v5, v2, v5, 0x487af6d0
	;; [unrolled: 1-line block ×4, first 2 shown]
	v_rcp_f32_e32 v13, v12
	v_fmaak_f32 v3, v2, v3, 0x4c8c277d
	v_fmaak_f32 v5, v2, v5, 0x4c9f4aa7
	;; [unrolled: 1-line block ×4, first 2 shown]
	v_ldexp_f32 v11, v1, v11
	v_fmaak_f32 v3, v2, v3, 0x508bc61d
	v_fmaak_f32 v5, v2, v5, 0x50a509fc
	v_fmaak_f32 v6, v2, v6, 0xd9e700d2
	v_fmaak_f32 v7, v2, v7, 0x59515a15
	v_log_f32_e32 v11, v11
	v_fmaak_f32 v3, v2, v3, 0x5461faf8
	v_fmaak_f32 v5, v2, v5, 0x548a37dc
	;; [unrolled: 1-line block ×3, first 2 shown]
	v_fma_f32 v18, -v12, v13, 1.0
	v_fmaak_f32 v3, v2, v3, 0x580d1937
	v_fmaak_f32 v5, v2, v5, 0x58325852
	;; [unrolled: 1-line block ×3, first 2 shown]
	v_fmac_f32_e32 v13, v18, v13
	v_mul_f32_e32 v22, 0x3f317217, v11
	v_fmaak_f32 v3, v2, v3, 0x5b741f1e
	v_fmaak_f32 v5, v2, v5, 0x5b9f0600
	v_fma_f32 v18, 0x3f317217, v11, -v22
	v_fmaak_f32 v3, v2, v3, 0x5e5c878d
	v_fmaak_f32 v2, v2, v5, 0x5e93bcac
	v_div_scale_f32 v5, null, v3, v3, v6
	v_div_scale_f32 v8, null, v2, v2, v7
	v_div_scale_f32 v16, vcc_lo, v6, v3, v6
	v_rcp_f32_e32 v9, v5
	v_rcp_f32_e32 v10, v8
	v_div_scale_f32 v17, s1, v7, v2, v7
	v_fma_f32 v14, -v5, v9, 1.0
	v_fma_f32 v15, -v8, v10, 1.0
	v_fmac_f32_e32 v9, v14, v9
	v_fmac_f32_e32 v10, v15, v10
	v_mul_f32_e32 v14, v16, v9
	v_mul_f32_e32 v15, v17, v10
	v_fma_f32 v19, -v5, v14, v16
	v_fma_f32 v20, -v8, v15, v17
	v_fmac_f32_e32 v14, v19, v9
	v_fmac_f32_e32 v15, v20, v10
	v_fma_f32 v5, -v5, v14, v16
	v_mul_f32_e32 v16, v21, v13
	v_fma_f32 v8, -v8, v15, v17
	v_div_fmas_f32 v5, v5, v9, v14
	s_mov_b32 vcc_lo, s1
	v_fma_f32 v9, -v12, v16, v21
	v_div_fmas_f32 v8, v8, v10, v15
	v_fmamk_f32 v10, v11, 0x3377d1cf, v18
	v_cmp_gt_f32_e64 vcc_lo, 0x7f800000, |v11|
	v_div_fixup_f32 v3, v5, v3, v6
	v_fmac_f32_e32 v16, v9, v13
	v_div_fixup_f32 v2, v8, v2, v7
	v_fmac_f32_e32 v10, 0x3f317217, v11
	v_fmaak_f32 v7, v1, v1, 0xc16ae95a
	v_fmaak_f32 v8, v1, v1, 0xc244dfb3
	v_fma_f32 v12, -v12, v16, v21
	v_mul_f32_e32 v2, v1, v2
	v_cndmask_b32_e32 v10, v11, v10, vcc_lo
	s_mov_b32 vcc_lo, s2
	v_cndmask_b32_e64 v9, 0, 0x41b17218, s0
	v_mul_f32_e32 v2, v7, v2
	v_div_fmas_f32 v7, v12, v13, v16
	v_sub_f32_e32 v9, v10, v9
	v_mul_f32_e32 v2, v8, v2
	v_div_fixup_f32 v7, v7, v1, -1.0
	v_fmac_f32_e32 v7, v9, v2
	v_mul_f32_e32 v2, 0x3f22f983, v7
	v_fmac_f32_e32 v2, v1, v3
.LBB19_182:
	s_or_b32 exec_lo, exec_lo, s33
.LBB19_183:
	s_or_b32 exec_lo, exec_lo, s31
                                        ; implicit-def: $vgpr1
.LBB19_184:
	s_andn2_saveexec_b32 s3, s3
	s_cbranch_execz .LBB19_194
; %bb.185:
	v_add_f32_e32 v2, 0xc016cbe4, v1
                                        ; implicit-def: $vgpr6
                                        ; implicit-def: $vgpr5
	v_and_b32_e32 v3, 0x7fffffff, v2
	v_cmp_ngt_f32_e64 s2, 0x48000000, |v2|
	s_and_saveexec_b32 s0, s2
	s_xor_b32 s31, exec_lo, s0
	s_cbranch_execz .LBB19_187
; %bb.186:
	s_mov_b32 s0, 0x7fffff
	v_mov_b32_e32 v7, 0
	v_and_or_b32 v14, v3, s0, 0x800000
	v_lshrrev_b32_e32 v12, 23, v3
	v_mad_u64_u32 v[5:6], null, 0xfe5163ab, v14, 0
	v_add_nc_u32_e32 v13, 0xffffff88, v12
	v_cmp_lt_u32_e32 vcc_lo, 63, v13
	v_mad_u64_u32 v[8:9], null, 0x3c439041, v14, v[6:7]
	v_cndmask_b32_e64 v15, 0, 0xffffffc0, vcc_lo
	v_mov_b32_e32 v6, v9
	v_add_nc_u32_e32 v15, v15, v13
	v_mad_u64_u32 v[9:10], null, 0xdb629599, v14, v[6:7]
	v_cmp_lt_u32_e64 s0, 31, v15
	v_cndmask_b32_e64 v16, 0, 0xffffffe0, s0
	v_mov_b32_e32 v6, v10
	v_cndmask_b32_e32 v5, v9, v5, vcc_lo
	v_mad_u64_u32 v[10:11], null, 0xf534ddc0, v14, v[6:7]
	v_mov_b32_e32 v6, v11
	v_cndmask_b32_e32 v8, v10, v8, vcc_lo
	v_mad_u64_u32 v[11:12], null, 0xfc2757d1, v14, v[6:7]
	v_cndmask_b32_e64 v5, v8, v5, s0
	v_mov_b32_e32 v6, v12
	v_mad_u64_u32 v[12:13], null, 0x4e441529, v14, v[6:7]
	v_mov_b32_e32 v6, v13
	v_add_nc_u32_e32 v13, v16, v15
	v_cndmask_b32_e32 v15, v12, v10, vcc_lo
	v_mad_u64_u32 v[6:7], null, 0xa2f9836e, v14, v[6:7]
	v_cmp_lt_u32_e64 s1, 31, v13
	v_cndmask_b32_e64 v14, 0, 0xffffffe0, s1
	v_cndmask_b32_e32 v6, v6, v11, vcc_lo
	v_cndmask_b32_e32 v7, v7, v12, vcc_lo
	;; [unrolled: 1-line block ×3, first 2 shown]
	v_add_nc_u32_e32 v12, v14, v13
	v_cndmask_b32_e64 v10, v6, v15, s0
	v_cndmask_b32_e64 v6, v7, v6, s0
	;; [unrolled: 1-line block ×4, first 2 shown]
	v_sub_nc_u32_e32 v13, 32, v12
	v_cmp_eq_u32_e32 vcc_lo, 0, v12
	v_cndmask_b32_e64 v6, v6, v10, s1
	v_cndmask_b32_e64 v10, v10, v7, s1
	;; [unrolled: 1-line block ×4, first 2 shown]
	v_alignbit_b32 v14, v6, v10, v13
	v_alignbit_b32 v9, v10, v7, v13
	;; [unrolled: 1-line block ×3, first 2 shown]
	v_cndmask_b32_e32 v6, v14, v6, vcc_lo
	v_cndmask_b32_e32 v8, v9, v10, vcc_lo
	;; [unrolled: 1-line block ×3, first 2 shown]
	v_bfe_u32 v9, v6, 29, 1
	v_alignbit_b32 v10, v6, v8, 30
	v_alignbit_b32 v8, v8, v7, 30
	;; [unrolled: 1-line block ×3, first 2 shown]
	v_sub_nc_u32_e32 v11, 0, v9
	v_xor_b32_e32 v10, v10, v11
	v_xor_b32_e32 v7, v8, v11
	;; [unrolled: 1-line block ×3, first 2 shown]
	v_lshrrev_b32_e32 v11, 29, v6
	v_lshrrev_b32_e32 v6, 30, v6
	v_ffbh_u32_e32 v12, v10
	v_add_nc_u32_e32 v6, v9, v6
	v_min_u32_e32 v12, 32, v12
	v_sub_nc_u32_e32 v8, 31, v12
	v_lshlrev_b32_e32 v13, 23, v12
	v_alignbit_b32 v10, v10, v7, v8
	v_alignbit_b32 v5, v7, v5, v8
	v_lshlrev_b32_e32 v7, 31, v11
	v_alignbit_b32 v8, v10, v5, 9
	v_or_b32_e32 v11, 0.5, v7
	v_lshrrev_b32_e32 v10, 9, v10
	v_or_b32_e32 v7, 0x33000000, v7
	v_ffbh_u32_e32 v14, v8
	v_sub_nc_u32_e32 v11, v11, v13
	v_min_u32_e32 v13, 32, v14
	v_or_b32_e32 v10, v10, v11
	v_not_b32_e32 v11, v13
	v_mul_f32_e32 v14, 0x3fc90fda, v10
	v_add_lshl_u32 v12, v13, v12, 23
	v_alignbit_b32 v5, v8, v5, v11
	v_fma_f32 v8, 0x3fc90fda, v10, -v14
	v_sub_nc_u32_e32 v7, v7, v12
	v_lshrrev_b32_e32 v5, 9, v5
	v_fmamk_f32 v8, v10, 0x33a22168, v8
	v_or_b32_e32 v5, v7, v5
	v_fmac_f32_e32 v8, 0x3fc90fda, v5
	v_add_f32_e32 v5, v14, v8
	s_andn2_saveexec_b32 s0, s31
	s_branch .LBB19_188
.LBB19_187:
	s_andn2_saveexec_b32 s0, s31
.LBB19_188:
	v_mul_f32_e64 v5, 0x3f22f983, |v2|
	v_rndne_f32_e32 v6, v5
	v_fma_f32 v5, 0xbfc90fda, v6, |v2|
	v_fmamk_f32 v5, v6, 0xb3a22168, v5
	v_fmamk_f32 v5, v6, 0xa7c234c4, v5
	v_cvt_i32_f32_e32 v6, v6
; %bb.189:
	s_or_b32 exec_lo, exec_lo, s0
                                        ; implicit-def: $vgpr8
                                        ; implicit-def: $vgpr7
	s_and_saveexec_b32 s0, s2
	s_xor_b32 s2, exec_lo, s0
	s_cbranch_execz .LBB19_191
; %bb.190:
	s_mov_b32 s0, 0x7fffff
	v_mov_b32_e32 v9, 0
	v_and_or_b32 v16, v3, s0, 0x800000
	v_lshrrev_b32_e32 v14, 23, v3
	v_mad_u64_u32 v[7:8], null, 0xfe5163ab, v16, 0
	v_add_nc_u32_e32 v15, 0xffffff88, v14
	v_cmp_lt_u32_e32 vcc_lo, 63, v15
	v_mad_u64_u32 v[10:11], null, 0x3c439041, v16, v[8:9]
	v_cndmask_b32_e64 v17, 0, 0xffffffc0, vcc_lo
	v_mov_b32_e32 v8, v11
	v_add_nc_u32_e32 v17, v17, v15
	v_mad_u64_u32 v[11:12], null, 0xdb629599, v16, v[8:9]
	v_cmp_lt_u32_e64 s0, 31, v17
	v_cndmask_b32_e64 v18, 0, 0xffffffe0, s0
	v_mov_b32_e32 v8, v12
	v_cndmask_b32_e32 v7, v11, v7, vcc_lo
	v_mad_u64_u32 v[12:13], null, 0xf534ddc0, v16, v[8:9]
	v_mov_b32_e32 v8, v13
	v_cndmask_b32_e32 v10, v12, v10, vcc_lo
	v_mad_u64_u32 v[13:14], null, 0xfc2757d1, v16, v[8:9]
	v_cndmask_b32_e64 v7, v10, v7, s0
	v_mov_b32_e32 v8, v14
	v_mad_u64_u32 v[14:15], null, 0x4e441529, v16, v[8:9]
	v_mov_b32_e32 v8, v15
	v_add_nc_u32_e32 v15, v18, v17
	v_cndmask_b32_e32 v17, v14, v12, vcc_lo
	v_mad_u64_u32 v[8:9], null, 0xa2f9836e, v16, v[8:9]
	v_cmp_lt_u32_e64 s1, 31, v15
	v_cndmask_b32_e64 v16, 0, 0xffffffe0, s1
	v_cndmask_b32_e32 v8, v8, v13, vcc_lo
	v_cndmask_b32_e32 v9, v9, v14, vcc_lo
	;; [unrolled: 1-line block ×3, first 2 shown]
	v_add_nc_u32_e32 v14, v16, v15
	v_cndmask_b32_e64 v12, v8, v17, s0
	v_cndmask_b32_e64 v8, v9, v8, s0
	v_cndmask_b32_e64 v9, v17, v13, s0
	v_cndmask_b32_e64 v13, v13, v10, s0
	v_sub_nc_u32_e32 v15, 32, v14
	v_cmp_eq_u32_e32 vcc_lo, 0, v14
	v_cndmask_b32_e64 v8, v8, v12, s1
	v_cndmask_b32_e64 v12, v12, v9, s1
	;; [unrolled: 1-line block ×4, first 2 shown]
	v_alignbit_b32 v16, v8, v12, v15
	v_alignbit_b32 v11, v12, v9, v15
	;; [unrolled: 1-line block ×3, first 2 shown]
	v_cndmask_b32_e32 v8, v16, v8, vcc_lo
	v_cndmask_b32_e32 v10, v11, v12, vcc_lo
	;; [unrolled: 1-line block ×3, first 2 shown]
	v_bfe_u32 v11, v8, 29, 1
	v_alignbit_b32 v12, v8, v10, 30
	v_alignbit_b32 v10, v10, v9, 30
	;; [unrolled: 1-line block ×3, first 2 shown]
	v_sub_nc_u32_e32 v13, 0, v11
	v_xor_b32_e32 v12, v12, v13
	v_xor_b32_e32 v9, v10, v13
	;; [unrolled: 1-line block ×3, first 2 shown]
	v_lshrrev_b32_e32 v13, 29, v8
	v_lshrrev_b32_e32 v8, 30, v8
	v_ffbh_u32_e32 v14, v12
	v_add_nc_u32_e32 v8, v11, v8
	v_min_u32_e32 v14, 32, v14
	v_sub_nc_u32_e32 v10, 31, v14
	v_lshlrev_b32_e32 v15, 23, v14
	v_alignbit_b32 v12, v12, v9, v10
	v_alignbit_b32 v7, v9, v7, v10
	v_lshlrev_b32_e32 v9, 31, v13
	v_alignbit_b32 v10, v12, v7, 9
	v_or_b32_e32 v13, 0.5, v9
	v_lshrrev_b32_e32 v12, 9, v12
	v_or_b32_e32 v9, 0x33000000, v9
	v_ffbh_u32_e32 v16, v10
	v_sub_nc_u32_e32 v13, v13, v15
	v_min_u32_e32 v15, 32, v16
	v_or_b32_e32 v12, v12, v13
	v_not_b32_e32 v13, v15
	v_mul_f32_e32 v16, 0x3fc90fda, v12
	v_add_lshl_u32 v14, v15, v14, 23
	v_alignbit_b32 v7, v10, v7, v13
	v_fma_f32 v10, 0x3fc90fda, v12, -v16
	v_sub_nc_u32_e32 v9, v9, v14
	v_lshrrev_b32_e32 v7, 9, v7
	v_fmamk_f32 v10, v12, 0x33a22168, v10
	v_or_b32_e32 v7, v9, v7
	v_fmac_f32_e32 v10, 0x3fc90fda, v7
	v_add_f32_e32 v7, v16, v10
	s_andn2_saveexec_b32 s0, s2
	s_cbranch_execnz .LBB19_192
	s_branch .LBB19_193
.LBB19_191:
	s_andn2_saveexec_b32 s0, s2
.LBB19_192:
	v_mul_f32_e64 v7, 0x3f22f983, |v2|
	v_rndne_f32_e32 v8, v7
	v_fma_f32 v7, 0xbfc90fda, v8, |v2|
	v_fmamk_f32 v7, v8, 0xb3a22168, v7
	v_fmamk_f32 v7, v8, 0xa7c234c4, v7
	v_cvt_i32_f32_e32 v8, v8
.LBB19_193:
	s_or_b32 exec_lo, exec_lo, s0
	v_div_scale_f32 v9, null, v1, v1, 0x40a00000
	v_div_scale_f32 v12, vcc_lo, 0x40a00000, v1, 0x40a00000
	s_mov_b32 s0, 0xb94c1982
	v_rcp_f32_e32 v10, v9
	v_mul_f32_e32 v19, 0x4f800000, v1
	s_mov_b32 s1, 0x37d75334
	v_and_b32_e32 v14, 1, v8
	v_xor_b32_e32 v3, v3, v2
	v_lshlrev_b32_e32 v8, 30, v8
	v_and_b32_e32 v8, 0x80000000, v8
	v_fma_f32 v11, -v9, v10, 1.0
	v_fmac_f32_e32 v10, v11, v10
	v_mul_f32_e32 v11, v12, v10
	v_fma_f32 v13, -v9, v11, v12
	v_fmac_f32_e32 v11, v13, v10
	v_mul_f32_e32 v13, v7, v7
	v_fma_f32 v9, -v9, v11, v12
	v_fmaak_f32 v22, s0, v13, 0x3c0881c4
	v_fmaak_f32 v23, s1, v13, 0xbab64f3b
	v_div_fmas_f32 v9, v9, v10, v11
	v_mul_f32_e32 v10, v5, v5
	v_fmaak_f32 v23, v13, v23, 0x3d2aabf7
	v_and_b32_e32 v11, 1, v6
	v_fmaak_f32 v22, v13, v22, 0xbe2aaa9d
	v_div_fixup_f32 v9, v9, v1, 0x40a00000
	v_fmaak_f32 v20, s0, v10, 0x3c0881c4
	v_cmp_gt_f32_e64 s0, 0xf800000, v1
	v_fmaak_f32 v21, s1, v10, 0xbab64f3b
	v_fmaak_f32 v23, v13, v23, 0xbf000004
	v_mul_f32_e32 v12, v9, v9
	v_fmaak_f32 v20, v10, v20, 0xbe2aaa9d
	v_cndmask_b32_e64 v1, v1, v19, s0
	v_fmaak_f32 v21, v10, v21, 0x3d2aabf7
	v_mul_f32_e32 v22, v13, v22
	v_fmaak_f32 v15, 0, v12, 0x3d513fd3
	v_fmaak_f32 v16, 0, v12, 0x3a15c4d9
	;; [unrolled: 1-line block ×4, first 2 shown]
	v_mul_f32_e32 v20, v10, v20
	v_fmaak_f32 v15, v12, v15, 0x409f6dae
	v_fmaak_f32 v16, v12, v16, 0x3d8cfeeb
	;; [unrolled: 1-line block ×9, first 2 shown]
	v_fmac_f32_e32 v5, v5, v20
	v_fmaak_f32 v15, v12, v15, 0x43b763ca
	v_fmaak_f32 v16, v12, v16, 0x40a25d18
	;; [unrolled: 1-line block ×4, first 2 shown]
	v_sqrt_f32_e32 v26, v1
	v_fmaak_f32 v15, v12, v15, 0x4431b6ce
	v_fmaak_f32 v16, v12, v16, 0x410665cf
	;; [unrolled: 1-line block ×4, first 2 shown]
	v_fma_f32 v10, v10, v21, 1.0
	v_fmaak_f32 v15, v12, v15, 0x44155f56
	v_fmaak_f32 v16, v12, v16, 0x40a6b6ea
	;; [unrolled: 1-line block ×4, first 2 shown]
	v_fma_f32 v13, v13, v23, 1.0
	v_fmaak_f32 v15, v12, v15, 0x4353b052
	v_fma_f32 v16, v12, v16, 1.0
	v_fma_f32 v17, v12, v17, 1.0
	v_fmaak_f32 v18, v12, v18, 0x43a80bfb
	v_cmp_eq_u32_e64 s2, 0, v11
	v_fmaak_f32 v12, v12, v15, 0x41c9a7fa
	v_lshlrev_b32_e32 v6, 30, v6
	v_div_scale_f32 v15, null, v16, v16, v17
	v_div_scale_f32 v29, vcc_lo, v17, v16, v17
	v_div_scale_f32 v24, null, v18, v18, v12
	v_rcp_f32_e32 v19, v15
	v_fmac_f32_e32 v7, v7, v22
	v_cndmask_b32_e64 v5, v10, v5, s2
	v_rcp_f32_e32 v25, v24
	v_cmp_eq_u32_e64 s2, 0, v14
	v_and_b32_e32 v6, 0x80000000, v6
	v_add_nc_u32_e32 v22, -1, v26
	v_cndmask_b32_e64 v7, -v7, v13, s2
	v_fma_f32 v27, -v15, v19, 1.0
	v_fma_f32 v10, -v22, v26, v1
	v_xor3_b32 v3, v3, v6, v5
	v_fma_f32 v28, -v24, v25, 1.0
	v_xor_b32_e32 v7, v8, v7
	v_fmac_f32_e32 v19, v27, v19
	v_div_scale_f32 v27, s1, v12, v18, v12
	v_fmac_f32_e32 v25, v28, v25
	v_add_nc_u32_e32 v28, 1, v26
	v_mul_f32_e32 v20, v29, v19
	v_mul_f32_e32 v21, v27, v25
	v_fma_f32 v11, -v28, v26, v1
	v_fma_f32 v23, -v15, v20, v29
	;; [unrolled: 1-line block ×3, first 2 shown]
	v_fmac_f32_e32 v20, v23, v19
	v_fmac_f32_e32 v21, v30, v25
	v_fma_f32 v13, -v15, v20, v29
	v_fma_f32 v5, -v24, v21, v27
	v_div_fmas_f32 v6, v13, v19, v20
	s_mov_b32 vcc_lo, s1
	v_cmp_ge_f32_e64 s1, 0, v10
	v_div_fmas_f32 v5, v5, v25, v21
	v_cmp_class_f32_e64 vcc_lo, v2, 0x1f8
	v_div_fixup_f32 v6, v6, v16, v17
	v_cndmask_b32_e64 v2, v26, v22, s1
	v_div_fixup_f32 v5, v5, v18, v12
	v_cmp_lt_f32_e64 s1, 0, v11
	v_cndmask_b32_e32 v7, 0x7fc00000, v7, vcc_lo
	v_cndmask_b32_e32 v3, 0x7fc00000, v3, vcc_lo
	v_cmp_class_f32_e64 vcc_lo, v1, 0x260
	v_mul_f32_e32 v5, v9, v5
	v_cndmask_b32_e64 v2, v2, v28, s1
	v_mul_f32_e32 v5, v5, v7
	v_mul_f32_e32 v8, 0x37800000, v2
	v_fmac_f32_e32 v5, v6, v3
	v_cndmask_b32_e64 v2, v2, v8, s0
	v_cndmask_b32_e32 v1, v2, v1, vcc_lo
	v_mul_f32_e32 v2, 0x3f4c422a, v5
	v_div_scale_f32 v3, null, v1, v1, v2
	v_rcp_f32_e32 v5, v3
	v_fma_f32 v6, -v3, v5, 1.0
	v_fmac_f32_e32 v5, v6, v5
	v_div_scale_f32 v6, vcc_lo, v2, v1, v2
	v_mul_f32_e32 v7, v6, v5
	v_fma_f32 v8, -v3, v7, v6
	v_fmac_f32_e32 v7, v8, v5
	v_fma_f32 v3, -v3, v7, v6
	v_div_fmas_f32 v3, v3, v5, v7
	v_div_fixup_f32 v2, v3, v1, v2
.LBB19_194:
	s_or_b32 exec_lo, exec_lo, s3
	v_add_nc_u32_e32 v4, 0x80, v4
	global_store_dword v0, v2, s[4:5]
	s_or_b32 exec_lo, exec_lo, s30
	s_mov_b32 s30, exec_lo
	v_cmpx_gt_i32_e64 s27, v4
	s_cbranch_execnz .LBB19_164
.LBB19_195:
	s_or_b32 exec_lo, exec_lo, s30
	v_cmp_gt_i32_e32 vcc_lo, s27, v4
	s_and_saveexec_b32 s27, vcc_lo
	s_cbranch_execnz .LBB19_222
.LBB19_196:
	s_or_b32 exec_lo, exec_lo, s27
                                        ; implicit-def: $vgpr13
                                        ; implicit-def: $vgpr4
	s_andn2_saveexec_b32 s0, s25
	s_cbranch_execnz .LBB19_8
.LBB19_197:
	s_endpgm
.LBB19_198:
	v_mov_b32_e32 v0, 0
	v_mov_b32_e32 v2, 0
	v_mov_b32_e32 v1, v4
	s_mov_b32 s31, 0
.LBB19_199:
	s_and_b32 s33, s33, 3
	s_cmp_eq_u32 s33, 0
	s_cbranch_scc1 .LBB19_202
; %bb.200:
	s_lshl_b32 s0, s31, 3
	s_mul_i32 s2, s31, 12
	s_add_u32 s0, s16, s0
	s_addc_u32 s1, s17, 0
	s_add_u32 s0, s0, 0xc4
	s_addc_u32 s1, s1, 0
	;; [unrolled: 2-line block ×3, first 2 shown]
	.p2align	6
.LBB19_201:                             ; =>This Inner Loop Header: Depth=1
	s_clause 0x1
	s_load_dwordx2 s[34:35], s[2:3], 0x4
	s_load_dword s31, s[2:3], 0xc
	s_load_dwordx2 s[36:37], s[0:1], 0x0
	s_add_u32 s2, s2, 12
	s_addc_u32 s3, s3, 0
	s_add_u32 s0, s0, 8
	s_addc_u32 s1, s1, 0
	s_add_i32 s33, s33, -1
	s_cmp_lg_u32 s33, 0
	s_waitcnt lgkmcnt(0)
	v_mul_hi_u32 v3, s35, v1
	v_add_nc_u32_e32 v3, v1, v3
	v_lshrrev_b32_e32 v5, s31, v3
	v_mul_lo_u32 v3, v5, s34
	v_sub_nc_u32_e32 v3, v1, v3
	v_mad_u64_u32 v[0:1], null, v3, s36, v[0:1]
	v_mad_u64_u32 v[2:3], null, v3, s37, v[2:3]
	v_mov_b32_e32 v1, v5
	s_cbranch_scc1 .LBB19_201
.LBB19_202:
	s_cbranch_execnz .LBB19_205
.LBB19_203:
	s_waitcnt lgkmcnt(0)
	v_mul_hi_u32 v0, s13, v4
	s_andn2_b32 vcc_lo, exec_lo, s26
	v_add_nc_u32_e32 v0, v4, v0
	v_lshrrev_b32_e32 v1, s14, v0
	v_mul_lo_u32 v0, v1, s12
	v_sub_nc_u32_e32 v2, v4, v0
	v_mul_lo_u32 v0, v2, s8
	v_mul_lo_u32 v2, v2, s9
	s_cbranch_vccnz .LBB19_205
; %bb.204:
	v_mul_hi_u32 v3, s18, v1
	v_add_nc_u32_e32 v3, v1, v3
	v_lshrrev_b32_e32 v3, s19, v3
	v_mul_lo_u32 v3, v3, s15
	v_sub_nc_u32_e32 v3, v1, v3
	v_mad_u64_u32 v[0:1], null, v3, s10, v[0:1]
	v_mad_u64_u32 v[2:3], null, v3, s11, v[2:3]
.LBB19_205:
	s_waitcnt lgkmcnt(0)
	global_load_dword v1, v2, s[6:7]
                                        ; implicit-def: $vgpr2
	s_mov_b32 s0, exec_lo
	s_waitcnt vmcnt(0)
	v_cmpx_ge_f32_e32 0x40a00000, v1
	s_xor_b32 s3, exec_lo, s0
	s_cbranch_execz .LBB19_211
; %bb.206:
	v_mov_b32_e32 v2, 0xff800000
	s_mov_b32 s31, exec_lo
	v_cmpx_neq_f32_e32 0, v1
	s_cbranch_execz .LBB19_210
; %bb.207:
	v_mov_b32_e32 v2, 0x7fc00000
	s_mov_b32 s33, exec_lo
	v_cmpx_nge_f32_e32 0, v1
	s_cbranch_execz .LBB19_209
; %bb.208:
	v_mul_f32_e32 v2, v1, v1
	v_cmp_gt_f32_e64 s0, 0x800000, v1
	v_div_scale_f32 v12, null, v1, v1, -1.0
	v_div_scale_f32 v21, s2, -1.0, v1, -1.0
	v_fmaak_f32 v3, 0, v2, 0x4414934d
	v_fmaak_f32 v5, 0, v2, 0x441b3589
	;; [unrolled: 1-line block ×4, first 2 shown]
	v_cndmask_b32_e64 v11, 0, 32, s0
	v_fmaak_f32 v3, v2, v3, 0x48660b06
	v_fmaak_f32 v5, v2, v5, 0x487af6d0
	;; [unrolled: 1-line block ×4, first 2 shown]
	v_rcp_f32_e32 v13, v12
	v_fmaak_f32 v3, v2, v3, 0x4c8c277d
	v_fmaak_f32 v5, v2, v5, 0x4c9f4aa7
	;; [unrolled: 1-line block ×4, first 2 shown]
	v_ldexp_f32 v11, v1, v11
	v_fmaak_f32 v3, v2, v3, 0x508bc61d
	v_fmaak_f32 v5, v2, v5, 0x50a509fc
	v_fmaak_f32 v6, v2, v6, 0xd9e700d2
	v_fmaak_f32 v7, v2, v7, 0x59515a15
	v_log_f32_e32 v11, v11
	v_fmaak_f32 v3, v2, v3, 0x5461faf8
	v_fmaak_f32 v5, v2, v5, 0x548a37dc
	;; [unrolled: 1-line block ×3, first 2 shown]
	v_fma_f32 v18, -v12, v13, 1.0
	v_fmaak_f32 v3, v2, v3, 0x580d1937
	v_fmaak_f32 v5, v2, v5, 0x58325852
	;; [unrolled: 1-line block ×3, first 2 shown]
	v_fmac_f32_e32 v13, v18, v13
	v_mul_f32_e32 v22, 0x3f317217, v11
	v_fmaak_f32 v3, v2, v3, 0x5b741f1e
	v_fmaak_f32 v5, v2, v5, 0x5b9f0600
	v_fma_f32 v18, 0x3f317217, v11, -v22
	v_fmaak_f32 v3, v2, v3, 0x5e5c878d
	v_fmaak_f32 v2, v2, v5, 0x5e93bcac
	v_div_scale_f32 v5, null, v3, v3, v6
	v_div_scale_f32 v8, null, v2, v2, v7
	v_div_scale_f32 v16, vcc_lo, v6, v3, v6
	v_rcp_f32_e32 v9, v5
	v_rcp_f32_e32 v10, v8
	v_div_scale_f32 v17, s1, v7, v2, v7
	v_fma_f32 v14, -v5, v9, 1.0
	v_fma_f32 v15, -v8, v10, 1.0
	v_fmac_f32_e32 v9, v14, v9
	v_fmac_f32_e32 v10, v15, v10
	v_mul_f32_e32 v14, v16, v9
	v_mul_f32_e32 v15, v17, v10
	v_fma_f32 v19, -v5, v14, v16
	v_fma_f32 v20, -v8, v15, v17
	v_fmac_f32_e32 v14, v19, v9
	v_fmac_f32_e32 v15, v20, v10
	v_fma_f32 v5, -v5, v14, v16
	v_mul_f32_e32 v16, v21, v13
	v_fma_f32 v8, -v8, v15, v17
	v_div_fmas_f32 v5, v5, v9, v14
	s_mov_b32 vcc_lo, s1
	v_fma_f32 v9, -v12, v16, v21
	v_div_fmas_f32 v8, v8, v10, v15
	v_fmamk_f32 v10, v11, 0x3377d1cf, v18
	v_cmp_gt_f32_e64 vcc_lo, 0x7f800000, |v11|
	v_div_fixup_f32 v3, v5, v3, v6
	v_fmac_f32_e32 v16, v9, v13
	v_div_fixup_f32 v2, v8, v2, v7
	v_fmac_f32_e32 v10, 0x3f317217, v11
	v_fmaak_f32 v7, v1, v1, 0xc16ae95a
	v_fmaak_f32 v8, v1, v1, 0xc244dfb3
	v_fma_f32 v12, -v12, v16, v21
	v_mul_f32_e32 v2, v1, v2
	v_cndmask_b32_e32 v10, v11, v10, vcc_lo
	s_mov_b32 vcc_lo, s2
	v_cndmask_b32_e64 v9, 0, 0x41b17218, s0
	v_mul_f32_e32 v2, v7, v2
	v_div_fmas_f32 v7, v12, v13, v16
	v_sub_f32_e32 v9, v10, v9
	v_mul_f32_e32 v2, v8, v2
	v_div_fixup_f32 v7, v7, v1, -1.0
	v_fmac_f32_e32 v7, v9, v2
	v_mul_f32_e32 v2, 0x3f22f983, v7
	v_fmac_f32_e32 v2, v1, v3
.LBB19_209:
	s_or_b32 exec_lo, exec_lo, s33
.LBB19_210:
	s_or_b32 exec_lo, exec_lo, s31
                                        ; implicit-def: $vgpr1
.LBB19_211:
	s_andn2_saveexec_b32 s3, s3
	s_cbranch_execz .LBB19_221
; %bb.212:
	v_add_f32_e32 v2, 0xc016cbe4, v1
                                        ; implicit-def: $vgpr6
                                        ; implicit-def: $vgpr5
	v_and_b32_e32 v3, 0x7fffffff, v2
	v_cmp_ngt_f32_e64 s2, 0x48000000, |v2|
	s_and_saveexec_b32 s0, s2
	s_xor_b32 s31, exec_lo, s0
	s_cbranch_execz .LBB19_214
; %bb.213:
	s_mov_b32 s0, 0x7fffff
	v_mov_b32_e32 v7, 0
	v_and_or_b32 v14, v3, s0, 0x800000
	v_lshrrev_b32_e32 v12, 23, v3
	v_mad_u64_u32 v[5:6], null, 0xfe5163ab, v14, 0
	v_add_nc_u32_e32 v13, 0xffffff88, v12
	v_cmp_lt_u32_e32 vcc_lo, 63, v13
	v_mad_u64_u32 v[8:9], null, 0x3c439041, v14, v[6:7]
	v_cndmask_b32_e64 v15, 0, 0xffffffc0, vcc_lo
	v_mov_b32_e32 v6, v9
	v_add_nc_u32_e32 v15, v15, v13
	v_mad_u64_u32 v[9:10], null, 0xdb629599, v14, v[6:7]
	v_cmp_lt_u32_e64 s0, 31, v15
	v_cndmask_b32_e64 v16, 0, 0xffffffe0, s0
	v_mov_b32_e32 v6, v10
	v_cndmask_b32_e32 v5, v9, v5, vcc_lo
	v_mad_u64_u32 v[10:11], null, 0xf534ddc0, v14, v[6:7]
	v_mov_b32_e32 v6, v11
	v_cndmask_b32_e32 v8, v10, v8, vcc_lo
	v_mad_u64_u32 v[11:12], null, 0xfc2757d1, v14, v[6:7]
	v_cndmask_b32_e64 v5, v8, v5, s0
	v_mov_b32_e32 v6, v12
	v_mad_u64_u32 v[12:13], null, 0x4e441529, v14, v[6:7]
	v_mov_b32_e32 v6, v13
	v_add_nc_u32_e32 v13, v16, v15
	v_cndmask_b32_e32 v15, v12, v10, vcc_lo
	v_mad_u64_u32 v[6:7], null, 0xa2f9836e, v14, v[6:7]
	v_cmp_lt_u32_e64 s1, 31, v13
	v_cndmask_b32_e64 v14, 0, 0xffffffe0, s1
	v_cndmask_b32_e32 v6, v6, v11, vcc_lo
	v_cndmask_b32_e32 v7, v7, v12, vcc_lo
	;; [unrolled: 1-line block ×3, first 2 shown]
	v_add_nc_u32_e32 v12, v14, v13
	v_cndmask_b32_e64 v10, v6, v15, s0
	v_cndmask_b32_e64 v6, v7, v6, s0
	;; [unrolled: 1-line block ×4, first 2 shown]
	v_sub_nc_u32_e32 v13, 32, v12
	v_cmp_eq_u32_e32 vcc_lo, 0, v12
	v_cndmask_b32_e64 v6, v6, v10, s1
	v_cndmask_b32_e64 v10, v10, v7, s1
	;; [unrolled: 1-line block ×4, first 2 shown]
	v_alignbit_b32 v14, v6, v10, v13
	v_alignbit_b32 v9, v10, v7, v13
	;; [unrolled: 1-line block ×3, first 2 shown]
	v_cndmask_b32_e32 v6, v14, v6, vcc_lo
	v_cndmask_b32_e32 v8, v9, v10, vcc_lo
	v_cndmask_b32_e32 v7, v12, v7, vcc_lo
	v_bfe_u32 v9, v6, 29, 1
	v_alignbit_b32 v10, v6, v8, 30
	v_alignbit_b32 v8, v8, v7, 30
	;; [unrolled: 1-line block ×3, first 2 shown]
	v_sub_nc_u32_e32 v11, 0, v9
	v_xor_b32_e32 v10, v10, v11
	v_xor_b32_e32 v7, v8, v11
	;; [unrolled: 1-line block ×3, first 2 shown]
	v_lshrrev_b32_e32 v11, 29, v6
	v_lshrrev_b32_e32 v6, 30, v6
	v_ffbh_u32_e32 v12, v10
	v_add_nc_u32_e32 v6, v9, v6
	v_min_u32_e32 v12, 32, v12
	v_sub_nc_u32_e32 v8, 31, v12
	v_lshlrev_b32_e32 v13, 23, v12
	v_alignbit_b32 v10, v10, v7, v8
	v_alignbit_b32 v5, v7, v5, v8
	v_lshlrev_b32_e32 v7, 31, v11
	v_alignbit_b32 v8, v10, v5, 9
	v_or_b32_e32 v11, 0.5, v7
	v_lshrrev_b32_e32 v10, 9, v10
	v_or_b32_e32 v7, 0x33000000, v7
	v_ffbh_u32_e32 v14, v8
	v_sub_nc_u32_e32 v11, v11, v13
	v_min_u32_e32 v13, 32, v14
	v_or_b32_e32 v10, v10, v11
	v_not_b32_e32 v11, v13
	v_mul_f32_e32 v14, 0x3fc90fda, v10
	v_add_lshl_u32 v12, v13, v12, 23
	v_alignbit_b32 v5, v8, v5, v11
	v_fma_f32 v8, 0x3fc90fda, v10, -v14
	v_sub_nc_u32_e32 v7, v7, v12
	v_lshrrev_b32_e32 v5, 9, v5
	v_fmamk_f32 v8, v10, 0x33a22168, v8
	v_or_b32_e32 v5, v7, v5
	v_fmac_f32_e32 v8, 0x3fc90fda, v5
	v_add_f32_e32 v5, v14, v8
	s_andn2_saveexec_b32 s0, s31
	s_branch .LBB19_215
.LBB19_214:
	s_andn2_saveexec_b32 s0, s31
.LBB19_215:
	v_mul_f32_e64 v5, 0x3f22f983, |v2|
	v_rndne_f32_e32 v6, v5
	v_fma_f32 v5, 0xbfc90fda, v6, |v2|
	v_fmamk_f32 v5, v6, 0xb3a22168, v5
	v_fmamk_f32 v5, v6, 0xa7c234c4, v5
	v_cvt_i32_f32_e32 v6, v6
; %bb.216:
	s_or_b32 exec_lo, exec_lo, s0
                                        ; implicit-def: $vgpr8
                                        ; implicit-def: $vgpr7
	s_and_saveexec_b32 s0, s2
	s_xor_b32 s2, exec_lo, s0
	s_cbranch_execz .LBB19_218
; %bb.217:
	s_mov_b32 s0, 0x7fffff
	v_mov_b32_e32 v9, 0
	v_and_or_b32 v16, v3, s0, 0x800000
	v_lshrrev_b32_e32 v14, 23, v3
	v_mad_u64_u32 v[7:8], null, 0xfe5163ab, v16, 0
	v_add_nc_u32_e32 v15, 0xffffff88, v14
	v_cmp_lt_u32_e32 vcc_lo, 63, v15
	v_mad_u64_u32 v[10:11], null, 0x3c439041, v16, v[8:9]
	v_cndmask_b32_e64 v17, 0, 0xffffffc0, vcc_lo
	v_mov_b32_e32 v8, v11
	v_add_nc_u32_e32 v17, v17, v15
	v_mad_u64_u32 v[11:12], null, 0xdb629599, v16, v[8:9]
	v_cmp_lt_u32_e64 s0, 31, v17
	v_cndmask_b32_e64 v18, 0, 0xffffffe0, s0
	v_mov_b32_e32 v8, v12
	v_cndmask_b32_e32 v7, v11, v7, vcc_lo
	v_mad_u64_u32 v[12:13], null, 0xf534ddc0, v16, v[8:9]
	v_mov_b32_e32 v8, v13
	v_cndmask_b32_e32 v10, v12, v10, vcc_lo
	v_mad_u64_u32 v[13:14], null, 0xfc2757d1, v16, v[8:9]
	v_cndmask_b32_e64 v7, v10, v7, s0
	v_mov_b32_e32 v8, v14
	v_mad_u64_u32 v[14:15], null, 0x4e441529, v16, v[8:9]
	v_mov_b32_e32 v8, v15
	v_add_nc_u32_e32 v15, v18, v17
	v_cndmask_b32_e32 v17, v14, v12, vcc_lo
	v_mad_u64_u32 v[8:9], null, 0xa2f9836e, v16, v[8:9]
	v_cmp_lt_u32_e64 s1, 31, v15
	v_cndmask_b32_e64 v16, 0, 0xffffffe0, s1
	v_cndmask_b32_e32 v8, v8, v13, vcc_lo
	v_cndmask_b32_e32 v9, v9, v14, vcc_lo
	;; [unrolled: 1-line block ×3, first 2 shown]
	v_add_nc_u32_e32 v14, v16, v15
	v_cndmask_b32_e64 v12, v8, v17, s0
	v_cndmask_b32_e64 v8, v9, v8, s0
	;; [unrolled: 1-line block ×4, first 2 shown]
	v_sub_nc_u32_e32 v15, 32, v14
	v_cmp_eq_u32_e32 vcc_lo, 0, v14
	v_cndmask_b32_e64 v8, v8, v12, s1
	v_cndmask_b32_e64 v12, v12, v9, s1
	;; [unrolled: 1-line block ×4, first 2 shown]
	v_alignbit_b32 v16, v8, v12, v15
	v_alignbit_b32 v11, v12, v9, v15
	;; [unrolled: 1-line block ×3, first 2 shown]
	v_cndmask_b32_e32 v8, v16, v8, vcc_lo
	v_cndmask_b32_e32 v10, v11, v12, vcc_lo
	v_cndmask_b32_e32 v9, v14, v9, vcc_lo
	v_bfe_u32 v11, v8, 29, 1
	v_alignbit_b32 v12, v8, v10, 30
	v_alignbit_b32 v10, v10, v9, 30
	;; [unrolled: 1-line block ×3, first 2 shown]
	v_sub_nc_u32_e32 v13, 0, v11
	v_xor_b32_e32 v12, v12, v13
	v_xor_b32_e32 v9, v10, v13
	;; [unrolled: 1-line block ×3, first 2 shown]
	v_lshrrev_b32_e32 v13, 29, v8
	v_lshrrev_b32_e32 v8, 30, v8
	v_ffbh_u32_e32 v14, v12
	v_add_nc_u32_e32 v8, v11, v8
	v_min_u32_e32 v14, 32, v14
	v_sub_nc_u32_e32 v10, 31, v14
	v_lshlrev_b32_e32 v15, 23, v14
	v_alignbit_b32 v12, v12, v9, v10
	v_alignbit_b32 v7, v9, v7, v10
	v_lshlrev_b32_e32 v9, 31, v13
	v_alignbit_b32 v10, v12, v7, 9
	v_or_b32_e32 v13, 0.5, v9
	v_lshrrev_b32_e32 v12, 9, v12
	v_or_b32_e32 v9, 0x33000000, v9
	v_ffbh_u32_e32 v16, v10
	v_sub_nc_u32_e32 v13, v13, v15
	v_min_u32_e32 v15, 32, v16
	v_or_b32_e32 v12, v12, v13
	v_not_b32_e32 v13, v15
	v_mul_f32_e32 v16, 0x3fc90fda, v12
	v_add_lshl_u32 v14, v15, v14, 23
	v_alignbit_b32 v7, v10, v7, v13
	v_fma_f32 v10, 0x3fc90fda, v12, -v16
	v_sub_nc_u32_e32 v9, v9, v14
	v_lshrrev_b32_e32 v7, 9, v7
	v_fmamk_f32 v10, v12, 0x33a22168, v10
	v_or_b32_e32 v7, v9, v7
	v_fmac_f32_e32 v10, 0x3fc90fda, v7
	v_add_f32_e32 v7, v16, v10
	s_andn2_saveexec_b32 s0, s2
	s_cbranch_execnz .LBB19_219
	s_branch .LBB19_220
.LBB19_218:
	s_andn2_saveexec_b32 s0, s2
.LBB19_219:
	v_mul_f32_e64 v7, 0x3f22f983, |v2|
	v_rndne_f32_e32 v8, v7
	v_fma_f32 v7, 0xbfc90fda, v8, |v2|
	v_fmamk_f32 v7, v8, 0xb3a22168, v7
	v_fmamk_f32 v7, v8, 0xa7c234c4, v7
	v_cvt_i32_f32_e32 v8, v8
.LBB19_220:
	s_or_b32 exec_lo, exec_lo, s0
	v_div_scale_f32 v9, null, v1, v1, 0x40a00000
	v_div_scale_f32 v12, vcc_lo, 0x40a00000, v1, 0x40a00000
	s_mov_b32 s0, 0xb94c1982
	v_rcp_f32_e32 v10, v9
	v_mul_f32_e32 v19, 0x4f800000, v1
	s_mov_b32 s1, 0x37d75334
	v_and_b32_e32 v14, 1, v8
	v_xor_b32_e32 v3, v3, v2
	v_lshlrev_b32_e32 v8, 30, v8
	v_and_b32_e32 v8, 0x80000000, v8
	v_fma_f32 v11, -v9, v10, 1.0
	v_fmac_f32_e32 v10, v11, v10
	v_mul_f32_e32 v11, v12, v10
	v_fma_f32 v13, -v9, v11, v12
	v_fmac_f32_e32 v11, v13, v10
	v_mul_f32_e32 v13, v7, v7
	v_fma_f32 v9, -v9, v11, v12
	v_fmaak_f32 v22, s0, v13, 0x3c0881c4
	v_fmaak_f32 v23, s1, v13, 0xbab64f3b
	v_div_fmas_f32 v9, v9, v10, v11
	v_mul_f32_e32 v10, v5, v5
	v_fmaak_f32 v23, v13, v23, 0x3d2aabf7
	v_and_b32_e32 v11, 1, v6
	v_fmaak_f32 v22, v13, v22, 0xbe2aaa9d
	v_div_fixup_f32 v9, v9, v1, 0x40a00000
	v_fmaak_f32 v20, s0, v10, 0x3c0881c4
	v_cmp_gt_f32_e64 s0, 0xf800000, v1
	v_fmaak_f32 v21, s1, v10, 0xbab64f3b
	v_fmaak_f32 v23, v13, v23, 0xbf000004
	v_mul_f32_e32 v12, v9, v9
	v_fmaak_f32 v20, v10, v20, 0xbe2aaa9d
	v_cndmask_b32_e64 v1, v1, v19, s0
	v_fmaak_f32 v21, v10, v21, 0x3d2aabf7
	v_mul_f32_e32 v22, v13, v22
	v_fmaak_f32 v15, 0, v12, 0x3d513fd3
	v_fmaak_f32 v16, 0, v12, 0x3a15c4d9
	v_fmaak_f32 v17, 0, v12, 0x3a47c962
	v_fmaak_f32 v18, 0, v12, 0x42947983
	v_mul_f32_e32 v20, v10, v20
	v_fmaak_f32 v15, v12, v15, 0x409f6dae
	v_fmaak_f32 v16, v12, v16, 0x3d8cfeeb
	;; [unrolled: 1-line block ×9, first 2 shown]
	v_fmac_f32_e32 v5, v5, v20
	v_fmaak_f32 v15, v12, v15, 0x43b763ca
	v_fmaak_f32 v16, v12, v16, 0x40a25d18
	;; [unrolled: 1-line block ×4, first 2 shown]
	v_sqrt_f32_e32 v26, v1
	v_fmaak_f32 v15, v12, v15, 0x4431b6ce
	v_fmaak_f32 v16, v12, v16, 0x410665cf
	;; [unrolled: 1-line block ×4, first 2 shown]
	v_fma_f32 v10, v10, v21, 1.0
	v_fmaak_f32 v15, v12, v15, 0x44155f56
	v_fmaak_f32 v16, v12, v16, 0x40a6b6ea
	v_fmaak_f32 v17, v12, v17, 0x40a6dd51
	v_fmaak_f32 v18, v12, v18, 0x4530a316
	v_fma_f32 v13, v13, v23, 1.0
	v_fmaak_f32 v15, v12, v15, 0x4353b052
	v_fma_f32 v16, v12, v16, 1.0
	v_fma_f32 v17, v12, v17, 1.0
	v_fmaak_f32 v18, v12, v18, 0x43a80bfb
	v_cmp_eq_u32_e64 s2, 0, v11
	v_fmaak_f32 v12, v12, v15, 0x41c9a7fa
	v_lshlrev_b32_e32 v6, 30, v6
	v_div_scale_f32 v15, null, v16, v16, v17
	v_div_scale_f32 v29, vcc_lo, v17, v16, v17
	v_div_scale_f32 v24, null, v18, v18, v12
	v_rcp_f32_e32 v19, v15
	v_fmac_f32_e32 v7, v7, v22
	v_cndmask_b32_e64 v5, v10, v5, s2
	v_rcp_f32_e32 v25, v24
	v_cmp_eq_u32_e64 s2, 0, v14
	v_and_b32_e32 v6, 0x80000000, v6
	v_add_nc_u32_e32 v22, -1, v26
	v_cndmask_b32_e64 v7, -v7, v13, s2
	v_fma_f32 v27, -v15, v19, 1.0
	v_fma_f32 v10, -v22, v26, v1
	v_xor3_b32 v3, v3, v6, v5
	v_fma_f32 v28, -v24, v25, 1.0
	v_xor_b32_e32 v7, v8, v7
	v_fmac_f32_e32 v19, v27, v19
	v_div_scale_f32 v27, s1, v12, v18, v12
	v_fmac_f32_e32 v25, v28, v25
	v_add_nc_u32_e32 v28, 1, v26
	v_mul_f32_e32 v20, v29, v19
	v_mul_f32_e32 v21, v27, v25
	v_fma_f32 v11, -v28, v26, v1
	v_fma_f32 v23, -v15, v20, v29
	;; [unrolled: 1-line block ×3, first 2 shown]
	v_fmac_f32_e32 v20, v23, v19
	v_fmac_f32_e32 v21, v30, v25
	v_fma_f32 v13, -v15, v20, v29
	v_fma_f32 v5, -v24, v21, v27
	v_div_fmas_f32 v6, v13, v19, v20
	s_mov_b32 vcc_lo, s1
	v_cmp_ge_f32_e64 s1, 0, v10
	v_div_fmas_f32 v5, v5, v25, v21
	v_cmp_class_f32_e64 vcc_lo, v2, 0x1f8
	v_div_fixup_f32 v6, v6, v16, v17
	v_cndmask_b32_e64 v2, v26, v22, s1
	v_div_fixup_f32 v5, v5, v18, v12
	v_cmp_lt_f32_e64 s1, 0, v11
	v_cndmask_b32_e32 v7, 0x7fc00000, v7, vcc_lo
	v_cndmask_b32_e32 v3, 0x7fc00000, v3, vcc_lo
	v_cmp_class_f32_e64 vcc_lo, v1, 0x260
	v_mul_f32_e32 v5, v9, v5
	v_cndmask_b32_e64 v2, v2, v28, s1
	v_mul_f32_e32 v5, v5, v7
	v_mul_f32_e32 v8, 0x37800000, v2
	v_fmac_f32_e32 v5, v6, v3
	v_cndmask_b32_e64 v2, v2, v8, s0
	v_cndmask_b32_e32 v1, v2, v1, vcc_lo
	v_mul_f32_e32 v2, 0x3f4c422a, v5
	v_div_scale_f32 v3, null, v1, v1, v2
	v_rcp_f32_e32 v5, v3
	v_fma_f32 v6, -v3, v5, 1.0
	v_fmac_f32_e32 v5, v6, v5
	v_div_scale_f32 v6, vcc_lo, v2, v1, v2
	v_mul_f32_e32 v7, v6, v5
	v_fma_f32 v8, -v3, v7, v6
	v_fmac_f32_e32 v7, v8, v5
	v_fma_f32 v3, -v3, v7, v6
	v_div_fmas_f32 v3, v3, v5, v7
	v_div_fixup_f32 v2, v3, v1, v2
.LBB19_221:
	s_or_b32 exec_lo, exec_lo, s3
	v_add_nc_u32_e32 v4, 0x80, v4
	global_store_dword v0, v2, s[4:5]
	s_or_b32 exec_lo, exec_lo, s30
	v_cmp_gt_i32_e32 vcc_lo, s27, v4
	s_and_saveexec_b32 s27, vcc_lo
	s_cbranch_execz .LBB19_196
.LBB19_222:
	s_andn2_b32 vcc_lo, exec_lo, s24
	s_cbranch_vccnz .LBB19_227
; %bb.223:
	s_andn2_b32 vcc_lo, exec_lo, s29
	s_cbranch_vccnz .LBB19_228
; %bb.224:
	s_add_i32 s28, s28, 1
	s_cmp_eq_u32 s23, 2
	s_cbranch_scc1 .LBB19_229
; %bb.225:
	v_mov_b32_e32 v2, 0
	v_mov_b32_e32 v0, 0
	;; [unrolled: 1-line block ×3, first 2 shown]
	s_and_b32 s2, s28, 28
	s_mov_b32 s3, 0
	s_mov_b64 s[0:1], s[16:17]
.LBB19_226:                             ; =>This Inner Loop Header: Depth=1
	s_clause 0x1
	s_load_dwordx8 s[36:43], s[0:1], 0x4
	s_load_dwordx4 s[52:55], s[0:1], 0x24
	s_load_dwordx8 s[44:51], s[20:21], 0x0
	s_add_u32 s0, s0, 48
	s_addc_u32 s1, s1, 0
	s_add_i32 s3, s3, 4
	s_add_u32 s20, s20, 32
	s_addc_u32 s21, s21, 0
	s_cmp_eq_u32 s2, s3
	s_waitcnt lgkmcnt(0)
	v_mul_hi_u32 v3, s37, v1
	v_add_nc_u32_e32 v3, v1, v3
	v_lshrrev_b32_e32 v3, s38, v3
	v_mul_hi_u32 v5, s40, v3
	v_mul_lo_u32 v7, v3, s36
	v_add_nc_u32_e32 v5, v3, v5
	v_sub_nc_u32_e32 v1, v1, v7
	v_lshrrev_b32_e32 v5, s41, v5
	v_mul_lo_u32 v7, v1, s44
	v_mul_lo_u32 v9, v1, s45
	v_mul_hi_u32 v6, s43, v5
	v_add_nc_u32_e32 v6, v5, v6
	v_lshrrev_b32_e32 v6, s52, v6
	v_mul_hi_u32 v8, s54, v6
	v_mul_lo_u32 v10, v6, s42
	v_add_nc_u32_e32 v1, v6, v8
	v_mul_lo_u32 v8, v5, s39
	v_sub_nc_u32_e32 v5, v5, v10
	v_lshrrev_b32_e32 v1, s55, v1
	v_mul_lo_u32 v10, v5, s48
	v_mul_lo_u32 v5, v5, s49
	v_sub_nc_u32_e32 v3, v3, v8
	v_mul_lo_u32 v11, v1, s53
	v_mul_lo_u32 v8, v3, s46
	;; [unrolled: 1-line block ×3, first 2 shown]
	v_sub_nc_u32_e32 v6, v6, v11
	v_add3_u32 v0, v7, v0, v8
	v_mul_lo_u32 v11, v6, s50
	v_mul_lo_u32 v6, v6, s51
	v_add3_u32 v2, v9, v2, v3
	v_add3_u32 v0, v10, v0, v11
	;; [unrolled: 1-line block ×3, first 2 shown]
	s_cbranch_scc0 .LBB19_226
	s_branch .LBB19_230
.LBB19_227:
                                        ; implicit-def: $vgpr0
                                        ; implicit-def: $vgpr2
	s_branch .LBB19_234
.LBB19_228:
	v_mov_b32_e32 v0, 0
	v_mov_b32_e32 v2, 0
	s_branch .LBB19_233
.LBB19_229:
	v_mov_b32_e32 v0, 0
	v_mov_b32_e32 v2, 0
	;; [unrolled: 1-line block ×3, first 2 shown]
	s_mov_b32 s2, 0
.LBB19_230:
	s_and_b32 s20, s28, 3
	s_cmp_eq_u32 s20, 0
	s_cbranch_scc1 .LBB19_233
; %bb.231:
	s_lshl_b32 s0, s2, 3
	s_mul_i32 s2, s2, 12
	s_add_u32 s0, s16, s0
	s_addc_u32 s1, s17, 0
	s_add_u32 s0, s0, 0xc4
	s_addc_u32 s1, s1, 0
	;; [unrolled: 2-line block ×3, first 2 shown]
	.p2align	6
.LBB19_232:                             ; =>This Inner Loop Header: Depth=1
	s_clause 0x1
	s_load_dwordx2 s[28:29], s[2:3], 0x4
	s_load_dword s21, s[2:3], 0xc
	s_load_dwordx2 s[30:31], s[0:1], 0x0
	s_add_u32 s2, s2, 12
	s_addc_u32 s3, s3, 0
	s_add_u32 s0, s0, 8
	s_addc_u32 s1, s1, 0
	s_add_i32 s20, s20, -1
	s_cmp_lg_u32 s20, 0
	s_waitcnt lgkmcnt(0)
	v_mul_hi_u32 v3, s29, v1
	v_add_nc_u32_e32 v3, v1, v3
	v_lshrrev_b32_e32 v5, s21, v3
	v_mul_lo_u32 v3, v5, s28
	v_sub_nc_u32_e32 v3, v1, v3
	v_mad_u64_u32 v[0:1], null, v3, s30, v[0:1]
	v_mad_u64_u32 v[2:3], null, v3, s31, v[2:3]
	v_mov_b32_e32 v1, v5
	s_cbranch_scc1 .LBB19_232
.LBB19_233:
	s_cbranch_execnz .LBB19_236
.LBB19_234:
	s_waitcnt lgkmcnt(0)
	v_mul_hi_u32 v0, s13, v4
	s_andn2_b32 vcc_lo, exec_lo, s26
	v_add_nc_u32_e32 v0, v4, v0
	v_lshrrev_b32_e32 v1, s14, v0
	v_mul_lo_u32 v0, v1, s12
	v_sub_nc_u32_e32 v2, v4, v0
	v_mul_lo_u32 v0, v2, s8
	v_mul_lo_u32 v2, v2, s9
	s_cbranch_vccnz .LBB19_236
; %bb.235:
	v_mul_hi_u32 v3, s18, v1
	v_add_nc_u32_e32 v3, v1, v3
	v_lshrrev_b32_e32 v3, s19, v3
	v_mul_lo_u32 v3, v3, s15
	v_sub_nc_u32_e32 v3, v1, v3
	v_mad_u64_u32 v[0:1], null, v3, s10, v[0:1]
	v_mad_u64_u32 v[2:3], null, v3, s11, v[2:3]
.LBB19_236:
	s_waitcnt lgkmcnt(0)
	global_load_dword v1, v2, s[6:7]
                                        ; implicit-def: $vgpr2
	s_mov_b32 s0, exec_lo
	s_waitcnt vmcnt(0)
	v_cmpx_ge_f32_e32 0x40a00000, v1
	s_xor_b32 s3, exec_lo, s0
	s_cbranch_execz .LBB19_242
; %bb.237:
	v_mov_b32_e32 v2, 0xff800000
	s_mov_b32 s6, exec_lo
	v_cmpx_neq_f32_e32 0, v1
	s_cbranch_execz .LBB19_241
; %bb.238:
	v_mov_b32_e32 v2, 0x7fc00000
	s_mov_b32 s7, exec_lo
	v_cmpx_nge_f32_e32 0, v1
	s_cbranch_execz .LBB19_240
; %bb.239:
	v_mul_f32_e32 v2, v1, v1
	v_cmp_gt_f32_e64 s0, 0x800000, v1
	v_div_scale_f32 v11, null, v1, v1, -1.0
	v_div_scale_f32 v20, s2, -1.0, v1, -1.0
	v_fmaak_f32 v3, 0, v2, 0x4414934d
	v_fmaak_f32 v4, 0, v2, 0x441b3589
	;; [unrolled: 1-line block ×4, first 2 shown]
	v_cndmask_b32_e64 v10, 0, 32, s0
	v_fmaak_f32 v3, v2, v3, 0x48660b06
	v_fmaak_f32 v4, v2, v4, 0x487af6d0
	;; [unrolled: 1-line block ×4, first 2 shown]
	v_rcp_f32_e32 v12, v11
	v_fmaak_f32 v3, v2, v3, 0x4c8c277d
	v_fmaak_f32 v4, v2, v4, 0x4c9f4aa7
	;; [unrolled: 1-line block ×4, first 2 shown]
	v_ldexp_f32 v10, v1, v10
	v_fmaak_f32 v3, v2, v3, 0x508bc61d
	v_fmaak_f32 v4, v2, v4, 0x50a509fc
	;; [unrolled: 1-line block ×4, first 2 shown]
	v_log_f32_e32 v10, v10
	v_fmaak_f32 v3, v2, v3, 0x5461faf8
	v_fmaak_f32 v4, v2, v4, 0x548a37dc
	;; [unrolled: 1-line block ×3, first 2 shown]
	v_fma_f32 v17, -v11, v12, 1.0
	v_fmaak_f32 v3, v2, v3, 0x580d1937
	v_fmaak_f32 v4, v2, v4, 0x58325852
	;; [unrolled: 1-line block ×3, first 2 shown]
	v_fmac_f32_e32 v12, v17, v12
	v_mul_f32_e32 v21, 0x3f317217, v10
	v_fmaak_f32 v3, v2, v3, 0x5b741f1e
	v_fmaak_f32 v4, v2, v4, 0x5b9f0600
	v_fma_f32 v17, 0x3f317217, v10, -v21
	v_fmaak_f32 v3, v2, v3, 0x5e5c878d
	v_fmaak_f32 v2, v2, v4, 0x5e93bcac
	v_div_scale_f32 v4, null, v3, v3, v5
	v_div_scale_f32 v7, null, v2, v2, v6
	v_div_scale_f32 v15, vcc_lo, v5, v3, v5
	v_rcp_f32_e32 v8, v4
	v_rcp_f32_e32 v9, v7
	v_div_scale_f32 v16, s1, v6, v2, v6
	v_fma_f32 v13, -v4, v8, 1.0
	v_fma_f32 v14, -v7, v9, 1.0
	v_fmac_f32_e32 v8, v13, v8
	v_fmac_f32_e32 v9, v14, v9
	v_mul_f32_e32 v13, v15, v8
	v_mul_f32_e32 v14, v16, v9
	v_fma_f32 v18, -v4, v13, v15
	v_fma_f32 v19, -v7, v14, v16
	v_fmac_f32_e32 v13, v18, v8
	v_fmac_f32_e32 v14, v19, v9
	v_fma_f32 v4, -v4, v13, v15
	v_mul_f32_e32 v15, v20, v12
	v_fma_f32 v7, -v7, v14, v16
	v_div_fmas_f32 v4, v4, v8, v13
	s_mov_b32 vcc_lo, s1
	v_fma_f32 v8, -v11, v15, v20
	v_div_fmas_f32 v7, v7, v9, v14
	v_fmamk_f32 v9, v10, 0x3377d1cf, v17
	v_cmp_gt_f32_e64 vcc_lo, 0x7f800000, |v10|
	v_div_fixup_f32 v3, v4, v3, v5
	v_fmac_f32_e32 v15, v8, v12
	v_div_fixup_f32 v2, v7, v2, v6
	v_fmac_f32_e32 v9, 0x3f317217, v10
	v_fmaak_f32 v6, v1, v1, 0xc16ae95a
	v_fmaak_f32 v7, v1, v1, 0xc244dfb3
	v_fma_f32 v11, -v11, v15, v20
	v_mul_f32_e32 v2, v1, v2
	v_cndmask_b32_e32 v9, v10, v9, vcc_lo
	s_mov_b32 vcc_lo, s2
	v_cndmask_b32_e64 v8, 0, 0x41b17218, s0
	v_mul_f32_e32 v2, v6, v2
	v_div_fmas_f32 v6, v11, v12, v15
	v_sub_f32_e32 v8, v9, v8
	v_mul_f32_e32 v2, v7, v2
	v_div_fixup_f32 v6, v6, v1, -1.0
	v_fmac_f32_e32 v6, v8, v2
	v_mul_f32_e32 v2, 0x3f22f983, v6
	v_fmac_f32_e32 v2, v1, v3
.LBB19_240:
	s_or_b32 exec_lo, exec_lo, s7
.LBB19_241:
	s_or_b32 exec_lo, exec_lo, s6
                                        ; implicit-def: $vgpr1
.LBB19_242:
	s_andn2_saveexec_b32 s3, s3
	s_cbranch_execz .LBB19_252
; %bb.243:
	v_add_f32_e32 v2, 0xc016cbe4, v1
                                        ; implicit-def: $vgpr5
                                        ; implicit-def: $vgpr4
	v_and_b32_e32 v3, 0x7fffffff, v2
	v_cmp_ngt_f32_e64 s2, 0x48000000, |v2|
	s_and_saveexec_b32 s0, s2
	s_xor_b32 s6, exec_lo, s0
	s_cbranch_execz .LBB19_245
; %bb.244:
	s_mov_b32 s0, 0x7fffff
	v_mov_b32_e32 v6, 0
	v_and_or_b32 v13, v3, s0, 0x800000
	v_lshrrev_b32_e32 v11, 23, v3
	v_mad_u64_u32 v[4:5], null, 0xfe5163ab, v13, 0
	v_add_nc_u32_e32 v12, 0xffffff88, v11
	v_cmp_lt_u32_e32 vcc_lo, 63, v12
	v_mad_u64_u32 v[7:8], null, 0x3c439041, v13, v[5:6]
	v_cndmask_b32_e64 v14, 0, 0xffffffc0, vcc_lo
	v_mov_b32_e32 v5, v8
	v_add_nc_u32_e32 v14, v14, v12
	v_mad_u64_u32 v[8:9], null, 0xdb629599, v13, v[5:6]
	v_cmp_lt_u32_e64 s0, 31, v14
	v_cndmask_b32_e64 v15, 0, 0xffffffe0, s0
	v_mov_b32_e32 v5, v9
	v_cndmask_b32_e32 v4, v8, v4, vcc_lo
	v_mad_u64_u32 v[9:10], null, 0xf534ddc0, v13, v[5:6]
	v_mov_b32_e32 v5, v10
	v_cndmask_b32_e32 v7, v9, v7, vcc_lo
	v_mad_u64_u32 v[10:11], null, 0xfc2757d1, v13, v[5:6]
	v_cndmask_b32_e64 v4, v7, v4, s0
	v_mov_b32_e32 v5, v11
	v_mad_u64_u32 v[11:12], null, 0x4e441529, v13, v[5:6]
	v_mov_b32_e32 v5, v12
	v_add_nc_u32_e32 v12, v15, v14
	v_cndmask_b32_e32 v14, v11, v9, vcc_lo
	v_mad_u64_u32 v[5:6], null, 0xa2f9836e, v13, v[5:6]
	v_cmp_lt_u32_e64 s1, 31, v12
	v_cndmask_b32_e64 v13, 0, 0xffffffe0, s1
	v_cndmask_b32_e32 v5, v5, v10, vcc_lo
	v_cndmask_b32_e32 v6, v6, v11, vcc_lo
	;; [unrolled: 1-line block ×3, first 2 shown]
	v_add_nc_u32_e32 v11, v13, v12
	v_cndmask_b32_e64 v9, v5, v14, s0
	v_cndmask_b32_e64 v5, v6, v5, s0
	;; [unrolled: 1-line block ×4, first 2 shown]
	v_sub_nc_u32_e32 v12, 32, v11
	v_cmp_eq_u32_e32 vcc_lo, 0, v11
	v_cndmask_b32_e64 v5, v5, v9, s1
	v_cndmask_b32_e64 v9, v9, v6, s1
	;; [unrolled: 1-line block ×4, first 2 shown]
	v_alignbit_b32 v13, v5, v9, v12
	v_alignbit_b32 v8, v9, v6, v12
	;; [unrolled: 1-line block ×3, first 2 shown]
	v_cndmask_b32_e32 v5, v13, v5, vcc_lo
	v_cndmask_b32_e32 v7, v8, v9, vcc_lo
	;; [unrolled: 1-line block ×3, first 2 shown]
	v_bfe_u32 v8, v5, 29, 1
	v_alignbit_b32 v9, v5, v7, 30
	v_alignbit_b32 v7, v7, v6, 30
	;; [unrolled: 1-line block ×3, first 2 shown]
	v_sub_nc_u32_e32 v10, 0, v8
	v_xor_b32_e32 v9, v9, v10
	v_xor_b32_e32 v6, v7, v10
	;; [unrolled: 1-line block ×3, first 2 shown]
	v_lshrrev_b32_e32 v10, 29, v5
	v_lshrrev_b32_e32 v5, 30, v5
	v_ffbh_u32_e32 v11, v9
	v_add_nc_u32_e32 v5, v8, v5
	v_min_u32_e32 v11, 32, v11
	v_sub_nc_u32_e32 v7, 31, v11
	v_lshlrev_b32_e32 v12, 23, v11
	v_alignbit_b32 v9, v9, v6, v7
	v_alignbit_b32 v4, v6, v4, v7
	v_lshlrev_b32_e32 v6, 31, v10
	v_alignbit_b32 v7, v9, v4, 9
	v_or_b32_e32 v10, 0.5, v6
	v_lshrrev_b32_e32 v9, 9, v9
	v_or_b32_e32 v6, 0x33000000, v6
	v_ffbh_u32_e32 v13, v7
	v_sub_nc_u32_e32 v10, v10, v12
	v_min_u32_e32 v12, 32, v13
	v_or_b32_e32 v9, v9, v10
	v_not_b32_e32 v10, v12
	v_mul_f32_e32 v13, 0x3fc90fda, v9
	v_add_lshl_u32 v11, v12, v11, 23
	v_alignbit_b32 v4, v7, v4, v10
	v_fma_f32 v7, 0x3fc90fda, v9, -v13
	v_sub_nc_u32_e32 v6, v6, v11
	v_lshrrev_b32_e32 v4, 9, v4
	v_fmamk_f32 v7, v9, 0x33a22168, v7
	v_or_b32_e32 v4, v6, v4
	v_fmac_f32_e32 v7, 0x3fc90fda, v4
	v_add_f32_e32 v4, v13, v7
	s_andn2_saveexec_b32 s0, s6
	s_branch .LBB19_246
.LBB19_245:
	s_andn2_saveexec_b32 s0, s6
.LBB19_246:
	v_mul_f32_e64 v4, 0x3f22f983, |v2|
	v_rndne_f32_e32 v5, v4
	v_fma_f32 v4, 0xbfc90fda, v5, |v2|
	v_fmamk_f32 v4, v5, 0xb3a22168, v4
	v_fmamk_f32 v4, v5, 0xa7c234c4, v4
	v_cvt_i32_f32_e32 v5, v5
; %bb.247:
	s_or_b32 exec_lo, exec_lo, s0
                                        ; implicit-def: $vgpr7
                                        ; implicit-def: $vgpr6
	s_and_saveexec_b32 s0, s2
	s_xor_b32 s2, exec_lo, s0
	s_cbranch_execz .LBB19_249
; %bb.248:
	s_mov_b32 s0, 0x7fffff
	v_mov_b32_e32 v8, 0
	v_and_or_b32 v15, v3, s0, 0x800000
	v_lshrrev_b32_e32 v13, 23, v3
	v_mad_u64_u32 v[6:7], null, 0xfe5163ab, v15, 0
	v_add_nc_u32_e32 v14, 0xffffff88, v13
	v_cmp_lt_u32_e32 vcc_lo, 63, v14
	v_mad_u64_u32 v[9:10], null, 0x3c439041, v15, v[7:8]
	v_cndmask_b32_e64 v16, 0, 0xffffffc0, vcc_lo
	v_mov_b32_e32 v7, v10
	v_add_nc_u32_e32 v16, v16, v14
	v_mad_u64_u32 v[10:11], null, 0xdb629599, v15, v[7:8]
	v_cmp_lt_u32_e64 s0, 31, v16
	v_cndmask_b32_e64 v17, 0, 0xffffffe0, s0
	v_mov_b32_e32 v7, v11
	v_cndmask_b32_e32 v6, v10, v6, vcc_lo
	v_mad_u64_u32 v[11:12], null, 0xf534ddc0, v15, v[7:8]
	v_mov_b32_e32 v7, v12
	v_cndmask_b32_e32 v9, v11, v9, vcc_lo
	v_mad_u64_u32 v[12:13], null, 0xfc2757d1, v15, v[7:8]
	v_cndmask_b32_e64 v6, v9, v6, s0
	v_mov_b32_e32 v7, v13
	v_mad_u64_u32 v[13:14], null, 0x4e441529, v15, v[7:8]
	v_mov_b32_e32 v7, v14
	v_add_nc_u32_e32 v14, v17, v16
	v_cndmask_b32_e32 v16, v13, v11, vcc_lo
	v_mad_u64_u32 v[7:8], null, 0xa2f9836e, v15, v[7:8]
	v_cmp_lt_u32_e64 s1, 31, v14
	v_cndmask_b32_e64 v15, 0, 0xffffffe0, s1
	v_cndmask_b32_e32 v7, v7, v12, vcc_lo
	v_cndmask_b32_e32 v8, v8, v13, vcc_lo
	;; [unrolled: 1-line block ×3, first 2 shown]
	v_add_nc_u32_e32 v13, v15, v14
	v_cndmask_b32_e64 v11, v7, v16, s0
	v_cndmask_b32_e64 v7, v8, v7, s0
	;; [unrolled: 1-line block ×4, first 2 shown]
	v_sub_nc_u32_e32 v14, 32, v13
	v_cmp_eq_u32_e32 vcc_lo, 0, v13
	v_cndmask_b32_e64 v7, v7, v11, s1
	v_cndmask_b32_e64 v11, v11, v8, s1
	;; [unrolled: 1-line block ×4, first 2 shown]
	v_alignbit_b32 v15, v7, v11, v14
	v_alignbit_b32 v10, v11, v8, v14
	;; [unrolled: 1-line block ×3, first 2 shown]
	v_cndmask_b32_e32 v7, v15, v7, vcc_lo
	v_cndmask_b32_e32 v9, v10, v11, vcc_lo
	;; [unrolled: 1-line block ×3, first 2 shown]
	v_bfe_u32 v10, v7, 29, 1
	v_alignbit_b32 v11, v7, v9, 30
	v_alignbit_b32 v9, v9, v8, 30
	;; [unrolled: 1-line block ×3, first 2 shown]
	v_sub_nc_u32_e32 v12, 0, v10
	v_xor_b32_e32 v11, v11, v12
	v_xor_b32_e32 v8, v9, v12
	;; [unrolled: 1-line block ×3, first 2 shown]
	v_lshrrev_b32_e32 v12, 29, v7
	v_lshrrev_b32_e32 v7, 30, v7
	v_ffbh_u32_e32 v13, v11
	v_add_nc_u32_e32 v7, v10, v7
	v_min_u32_e32 v13, 32, v13
	v_sub_nc_u32_e32 v9, 31, v13
	v_lshlrev_b32_e32 v14, 23, v13
	v_alignbit_b32 v11, v11, v8, v9
	v_alignbit_b32 v6, v8, v6, v9
	v_lshlrev_b32_e32 v8, 31, v12
	v_alignbit_b32 v9, v11, v6, 9
	v_or_b32_e32 v12, 0.5, v8
	v_lshrrev_b32_e32 v11, 9, v11
	v_or_b32_e32 v8, 0x33000000, v8
	v_ffbh_u32_e32 v15, v9
	v_sub_nc_u32_e32 v12, v12, v14
	v_min_u32_e32 v14, 32, v15
	v_or_b32_e32 v11, v11, v12
	v_not_b32_e32 v12, v14
	v_mul_f32_e32 v15, 0x3fc90fda, v11
	v_add_lshl_u32 v13, v14, v13, 23
	v_alignbit_b32 v6, v9, v6, v12
	v_fma_f32 v9, 0x3fc90fda, v11, -v15
	v_sub_nc_u32_e32 v8, v8, v13
	v_lshrrev_b32_e32 v6, 9, v6
	v_fmamk_f32 v9, v11, 0x33a22168, v9
	v_or_b32_e32 v6, v8, v6
	v_fmac_f32_e32 v9, 0x3fc90fda, v6
	v_add_f32_e32 v6, v15, v9
	s_andn2_saveexec_b32 s0, s2
	s_cbranch_execnz .LBB19_250
	s_branch .LBB19_251
.LBB19_249:
	s_andn2_saveexec_b32 s0, s2
.LBB19_250:
	v_mul_f32_e64 v6, 0x3f22f983, |v2|
	v_rndne_f32_e32 v7, v6
	v_fma_f32 v6, 0xbfc90fda, v7, |v2|
	v_fmamk_f32 v6, v7, 0xb3a22168, v6
	v_fmamk_f32 v6, v7, 0xa7c234c4, v6
	v_cvt_i32_f32_e32 v7, v7
.LBB19_251:
	s_or_b32 exec_lo, exec_lo, s0
	v_div_scale_f32 v8, null, v1, v1, 0x40a00000
	v_div_scale_f32 v11, vcc_lo, 0x40a00000, v1, 0x40a00000
	s_mov_b32 s0, 0xb94c1982
	v_rcp_f32_e32 v9, v8
	v_mul_f32_e32 v18, 0x4f800000, v1
	s_mov_b32 s1, 0x37d75334
	v_and_b32_e32 v13, 1, v7
	v_xor_b32_e32 v3, v3, v2
	v_lshlrev_b32_e32 v7, 30, v7
	v_and_b32_e32 v7, 0x80000000, v7
	v_fma_f32 v10, -v8, v9, 1.0
	v_fmac_f32_e32 v9, v10, v9
	v_mul_f32_e32 v10, v11, v9
	v_fma_f32 v12, -v8, v10, v11
	v_fmac_f32_e32 v10, v12, v9
	v_mul_f32_e32 v12, v6, v6
	v_fma_f32 v8, -v8, v10, v11
	v_fmaak_f32 v21, s0, v12, 0x3c0881c4
	v_fmaak_f32 v22, s1, v12, 0xbab64f3b
	v_div_fmas_f32 v8, v8, v9, v10
	v_mul_f32_e32 v9, v4, v4
	v_fmaak_f32 v22, v12, v22, 0x3d2aabf7
	v_and_b32_e32 v10, 1, v5
	v_fmaak_f32 v21, v12, v21, 0xbe2aaa9d
	v_div_fixup_f32 v8, v8, v1, 0x40a00000
	v_fmaak_f32 v19, s0, v9, 0x3c0881c4
	v_cmp_gt_f32_e64 s0, 0xf800000, v1
	v_fmaak_f32 v20, s1, v9, 0xbab64f3b
	v_fmaak_f32 v22, v12, v22, 0xbf000004
	v_mul_f32_e32 v11, v8, v8
	v_fmaak_f32 v19, v9, v19, 0xbe2aaa9d
	v_cndmask_b32_e64 v1, v1, v18, s0
	v_fmaak_f32 v20, v9, v20, 0x3d2aabf7
	v_mul_f32_e32 v21, v12, v21
	v_fmaak_f32 v14, 0, v11, 0x3d513fd3
	v_fmaak_f32 v15, 0, v11, 0x3a15c4d9
	;; [unrolled: 1-line block ×4, first 2 shown]
	v_mul_f32_e32 v19, v9, v19
	v_fmaak_f32 v14, v11, v14, 0x409f6dae
	v_fmaak_f32 v15, v11, v15, 0x3d8cfeeb
	;; [unrolled: 1-line block ×9, first 2 shown]
	v_fmac_f32_e32 v4, v4, v19
	v_fmaak_f32 v14, v11, v14, 0x43b763ca
	v_fmaak_f32 v15, v11, v15, 0x40a25d18
	;; [unrolled: 1-line block ×4, first 2 shown]
	v_sqrt_f32_e32 v25, v1
	v_fmaak_f32 v14, v11, v14, 0x4431b6ce
	v_fmaak_f32 v15, v11, v15, 0x410665cf
	v_fmaak_f32 v16, v11, v16, 0x4106c8e4
	v_fmaak_f32 v17, v11, v17, 0x45f9e855
	v_fma_f32 v9, v9, v20, 1.0
	v_fmaak_f32 v14, v11, v14, 0x44155f56
	v_fmaak_f32 v15, v11, v15, 0x40a6b6ea
	;; [unrolled: 1-line block ×4, first 2 shown]
	v_fma_f32 v12, v12, v22, 1.0
	v_fmaak_f32 v14, v11, v14, 0x4353b052
	v_fma_f32 v15, v11, v15, 1.0
	v_fma_f32 v16, v11, v16, 1.0
	v_fmaak_f32 v17, v11, v17, 0x43a80bfb
	v_cmp_eq_u32_e64 s2, 0, v10
	v_fmaak_f32 v11, v11, v14, 0x41c9a7fa
	v_lshlrev_b32_e32 v5, 30, v5
	v_div_scale_f32 v14, null, v15, v15, v16
	v_div_scale_f32 v28, vcc_lo, v16, v15, v16
	v_div_scale_f32 v23, null, v17, v17, v11
	v_rcp_f32_e32 v18, v14
	v_fmac_f32_e32 v6, v6, v21
	v_cndmask_b32_e64 v4, v9, v4, s2
	v_rcp_f32_e32 v24, v23
	v_cmp_eq_u32_e64 s2, 0, v13
	v_and_b32_e32 v5, 0x80000000, v5
	v_add_nc_u32_e32 v21, -1, v25
	v_cndmask_b32_e64 v6, -v6, v12, s2
	v_fma_f32 v26, -v14, v18, 1.0
	v_fma_f32 v9, -v21, v25, v1
	v_xor3_b32 v3, v3, v5, v4
	v_fma_f32 v27, -v23, v24, 1.0
	v_xor_b32_e32 v6, v7, v6
	v_fmac_f32_e32 v18, v26, v18
	v_div_scale_f32 v26, s1, v11, v17, v11
	v_fmac_f32_e32 v24, v27, v24
	v_add_nc_u32_e32 v27, 1, v25
	v_mul_f32_e32 v19, v28, v18
	v_mul_f32_e32 v20, v26, v24
	v_fma_f32 v10, -v27, v25, v1
	v_fma_f32 v22, -v14, v19, v28
	;; [unrolled: 1-line block ×3, first 2 shown]
	v_fmac_f32_e32 v19, v22, v18
	v_fmac_f32_e32 v20, v29, v24
	v_fma_f32 v12, -v14, v19, v28
	v_fma_f32 v4, -v23, v20, v26
	v_div_fmas_f32 v5, v12, v18, v19
	s_mov_b32 vcc_lo, s1
	v_cmp_ge_f32_e64 s1, 0, v9
	v_div_fmas_f32 v4, v4, v24, v20
	v_cmp_class_f32_e64 vcc_lo, v2, 0x1f8
	v_div_fixup_f32 v5, v5, v15, v16
	v_cndmask_b32_e64 v2, v25, v21, s1
	v_div_fixup_f32 v4, v4, v17, v11
	v_cmp_lt_f32_e64 s1, 0, v10
	v_cndmask_b32_e32 v6, 0x7fc00000, v6, vcc_lo
	v_cndmask_b32_e32 v3, 0x7fc00000, v3, vcc_lo
	v_cmp_class_f32_e64 vcc_lo, v1, 0x260
	v_mul_f32_e32 v4, v8, v4
	v_cndmask_b32_e64 v2, v2, v27, s1
	v_mul_f32_e32 v4, v4, v6
	v_mul_f32_e32 v7, 0x37800000, v2
	v_fmac_f32_e32 v4, v5, v3
	v_cndmask_b32_e64 v2, v2, v7, s0
	v_cndmask_b32_e32 v1, v2, v1, vcc_lo
	v_mul_f32_e32 v2, 0x3f4c422a, v4
	v_div_scale_f32 v3, null, v1, v1, v2
	v_rcp_f32_e32 v4, v3
	v_fma_f32 v5, -v3, v4, 1.0
	v_fmac_f32_e32 v4, v5, v4
	v_div_scale_f32 v5, vcc_lo, v2, v1, v2
	v_mul_f32_e32 v6, v5, v4
	v_fma_f32 v7, -v3, v6, v5
	v_fmac_f32_e32 v6, v7, v4
	v_fma_f32 v3, -v3, v6, v5
	v_div_fmas_f32 v3, v3, v4, v6
	v_div_fixup_f32 v2, v3, v1, v2
.LBB19_252:
	s_or_b32 exec_lo, exec_lo, s3
	global_store_dword v0, v2, s[4:5]
	s_or_b32 exec_lo, exec_lo, s27
                                        ; implicit-def: $vgpr13
                                        ; implicit-def: $vgpr4
	s_andn2_saveexec_b32 s0, s25
	s_cbranch_execz .LBB19_197
	s_branch .LBB19_8
	.section	.rodata,"a",@progbits
	.p2align	6, 0x0
	.amdhsa_kernel _ZN2at6native32elementwise_kernel_manual_unrollILi128ELi4EZNS0_22gpu_kernel_impl_nocastIZZZNS0_12_GLOBAL__N_121bessel_y1_kernel_cudaERNS_18TensorIteratorBaseEENKUlvE_clEvENKUlvE0_clEvEUlfE_EEvS5_RKT_EUlibE_EEviT1_
		.amdhsa_group_segment_fixed_size 0
		.amdhsa_private_segment_fixed_size 0
		.amdhsa_kernarg_size 360
		.amdhsa_user_sgpr_count 6
		.amdhsa_user_sgpr_private_segment_buffer 1
		.amdhsa_user_sgpr_dispatch_ptr 0
		.amdhsa_user_sgpr_queue_ptr 0
		.amdhsa_user_sgpr_kernarg_segment_ptr 1
		.amdhsa_user_sgpr_dispatch_id 0
		.amdhsa_user_sgpr_flat_scratch_init 0
		.amdhsa_user_sgpr_private_segment_size 0
		.amdhsa_wavefront_size32 1
		.amdhsa_uses_dynamic_stack 0
		.amdhsa_system_sgpr_private_segment_wavefront_offset 0
		.amdhsa_system_sgpr_workgroup_id_x 1
		.amdhsa_system_sgpr_workgroup_id_y 0
		.amdhsa_system_sgpr_workgroup_id_z 0
		.amdhsa_system_sgpr_workgroup_info 0
		.amdhsa_system_vgpr_workitem_id 0
		.amdhsa_next_free_vgpr 36
		.amdhsa_next_free_sgpr 56
		.amdhsa_reserve_vcc 1
		.amdhsa_reserve_flat_scratch 0
		.amdhsa_float_round_mode_32 0
		.amdhsa_float_round_mode_16_64 0
		.amdhsa_float_denorm_mode_32 3
		.amdhsa_float_denorm_mode_16_64 3
		.amdhsa_dx10_clamp 1
		.amdhsa_ieee_mode 1
		.amdhsa_fp16_overflow 0
		.amdhsa_workgroup_processor_mode 1
		.amdhsa_memory_ordered 1
		.amdhsa_forward_progress 1
		.amdhsa_shared_vgpr_count 0
		.amdhsa_exception_fp_ieee_invalid_op 0
		.amdhsa_exception_fp_denorm_src 0
		.amdhsa_exception_fp_ieee_div_zero 0
		.amdhsa_exception_fp_ieee_overflow 0
		.amdhsa_exception_fp_ieee_underflow 0
		.amdhsa_exception_fp_ieee_inexact 0
		.amdhsa_exception_int_div_zero 0
	.end_amdhsa_kernel
	.section	.text._ZN2at6native32elementwise_kernel_manual_unrollILi128ELi4EZNS0_22gpu_kernel_impl_nocastIZZZNS0_12_GLOBAL__N_121bessel_y1_kernel_cudaERNS_18TensorIteratorBaseEENKUlvE_clEvENKUlvE0_clEvEUlfE_EEvS5_RKT_EUlibE_EEviT1_,"axG",@progbits,_ZN2at6native32elementwise_kernel_manual_unrollILi128ELi4EZNS0_22gpu_kernel_impl_nocastIZZZNS0_12_GLOBAL__N_121bessel_y1_kernel_cudaERNS_18TensorIteratorBaseEENKUlvE_clEvENKUlvE0_clEvEUlfE_EEvS5_RKT_EUlibE_EEviT1_,comdat
.Lfunc_end19:
	.size	_ZN2at6native32elementwise_kernel_manual_unrollILi128ELi4EZNS0_22gpu_kernel_impl_nocastIZZZNS0_12_GLOBAL__N_121bessel_y1_kernel_cudaERNS_18TensorIteratorBaseEENKUlvE_clEvENKUlvE0_clEvEUlfE_EEvS5_RKT_EUlibE_EEviT1_, .Lfunc_end19-_ZN2at6native32elementwise_kernel_manual_unrollILi128ELi4EZNS0_22gpu_kernel_impl_nocastIZZZNS0_12_GLOBAL__N_121bessel_y1_kernel_cudaERNS_18TensorIteratorBaseEENKUlvE_clEvENKUlvE0_clEvEUlfE_EEvS5_RKT_EUlibE_EEviT1_
                                        ; -- End function
	.set _ZN2at6native32elementwise_kernel_manual_unrollILi128ELi4EZNS0_22gpu_kernel_impl_nocastIZZZNS0_12_GLOBAL__N_121bessel_y1_kernel_cudaERNS_18TensorIteratorBaseEENKUlvE_clEvENKUlvE0_clEvEUlfE_EEvS5_RKT_EUlibE_EEviT1_.num_vgpr, 36
	.set _ZN2at6native32elementwise_kernel_manual_unrollILi128ELi4EZNS0_22gpu_kernel_impl_nocastIZZZNS0_12_GLOBAL__N_121bessel_y1_kernel_cudaERNS_18TensorIteratorBaseEENKUlvE_clEvENKUlvE0_clEvEUlfE_EEvS5_RKT_EUlibE_EEviT1_.num_agpr, 0
	.set _ZN2at6native32elementwise_kernel_manual_unrollILi128ELi4EZNS0_22gpu_kernel_impl_nocastIZZZNS0_12_GLOBAL__N_121bessel_y1_kernel_cudaERNS_18TensorIteratorBaseEENKUlvE_clEvENKUlvE0_clEvEUlfE_EEvS5_RKT_EUlibE_EEviT1_.numbered_sgpr, 56
	.set _ZN2at6native32elementwise_kernel_manual_unrollILi128ELi4EZNS0_22gpu_kernel_impl_nocastIZZZNS0_12_GLOBAL__N_121bessel_y1_kernel_cudaERNS_18TensorIteratorBaseEENKUlvE_clEvENKUlvE0_clEvEUlfE_EEvS5_RKT_EUlibE_EEviT1_.num_named_barrier, 0
	.set _ZN2at6native32elementwise_kernel_manual_unrollILi128ELi4EZNS0_22gpu_kernel_impl_nocastIZZZNS0_12_GLOBAL__N_121bessel_y1_kernel_cudaERNS_18TensorIteratorBaseEENKUlvE_clEvENKUlvE0_clEvEUlfE_EEvS5_RKT_EUlibE_EEviT1_.private_seg_size, 0
	.set _ZN2at6native32elementwise_kernel_manual_unrollILi128ELi4EZNS0_22gpu_kernel_impl_nocastIZZZNS0_12_GLOBAL__N_121bessel_y1_kernel_cudaERNS_18TensorIteratorBaseEENKUlvE_clEvENKUlvE0_clEvEUlfE_EEvS5_RKT_EUlibE_EEviT1_.uses_vcc, 1
	.set _ZN2at6native32elementwise_kernel_manual_unrollILi128ELi4EZNS0_22gpu_kernel_impl_nocastIZZZNS0_12_GLOBAL__N_121bessel_y1_kernel_cudaERNS_18TensorIteratorBaseEENKUlvE_clEvENKUlvE0_clEvEUlfE_EEvS5_RKT_EUlibE_EEviT1_.uses_flat_scratch, 0
	.set _ZN2at6native32elementwise_kernel_manual_unrollILi128ELi4EZNS0_22gpu_kernel_impl_nocastIZZZNS0_12_GLOBAL__N_121bessel_y1_kernel_cudaERNS_18TensorIteratorBaseEENKUlvE_clEvENKUlvE0_clEvEUlfE_EEvS5_RKT_EUlibE_EEviT1_.has_dyn_sized_stack, 0
	.set _ZN2at6native32elementwise_kernel_manual_unrollILi128ELi4EZNS0_22gpu_kernel_impl_nocastIZZZNS0_12_GLOBAL__N_121bessel_y1_kernel_cudaERNS_18TensorIteratorBaseEENKUlvE_clEvENKUlvE0_clEvEUlfE_EEvS5_RKT_EUlibE_EEviT1_.has_recursion, 0
	.set _ZN2at6native32elementwise_kernel_manual_unrollILi128ELi4EZNS0_22gpu_kernel_impl_nocastIZZZNS0_12_GLOBAL__N_121bessel_y1_kernel_cudaERNS_18TensorIteratorBaseEENKUlvE_clEvENKUlvE0_clEvEUlfE_EEvS5_RKT_EUlibE_EEviT1_.has_indirect_call, 0
	.section	.AMDGPU.csdata,"",@progbits
; Kernel info:
; codeLenInByte = 29180
; TotalNumSgprs: 58
; NumVgprs: 36
; ScratchSize: 0
; MemoryBound: 0
; FloatMode: 240
; IeeeMode: 1
; LDSByteSize: 0 bytes/workgroup (compile time only)
; SGPRBlocks: 0
; VGPRBlocks: 4
; NumSGPRsForWavesPerEU: 58
; NumVGPRsForWavesPerEU: 36
; Occupancy: 16
; WaveLimiterHint : 1
; COMPUTE_PGM_RSRC2:SCRATCH_EN: 0
; COMPUTE_PGM_RSRC2:USER_SGPR: 6
; COMPUTE_PGM_RSRC2:TRAP_HANDLER: 0
; COMPUTE_PGM_RSRC2:TGID_X_EN: 1
; COMPUTE_PGM_RSRC2:TGID_Y_EN: 0
; COMPUTE_PGM_RSRC2:TGID_Z_EN: 0
; COMPUTE_PGM_RSRC2:TIDIG_COMP_CNT: 0
	.text
	.p2align	2                               ; -- Begin function _ZN2at6native6invokeIZZZNS0_12_GLOBAL__N_121bessel_y1_kernel_cudaERNS_18TensorIteratorBaseEENKUlvE_clEvENKUlvE0_clEvEUlfE_i15function_traitsIS7_EEENT1_11result_typeERKT_PrKPcPKT0_PKN3c1010ScalarTypeEi
	.type	_ZN2at6native6invokeIZZZNS0_12_GLOBAL__N_121bessel_y1_kernel_cudaERNS_18TensorIteratorBaseEENKUlvE_clEvENKUlvE0_clEvEUlfE_i15function_traitsIS7_EEENT1_11result_typeERKT_PrKPcPKT0_PKN3c1010ScalarTypeEi,@function
_ZN2at6native6invokeIZZZNS0_12_GLOBAL__N_121bessel_y1_kernel_cudaERNS_18TensorIteratorBaseEENKUlvE_clEvENKUlvE0_clEvEUlfE_i15function_traitsIS7_EEENT1_11result_typeERKT_PrKPcPKT0_PKN3c1010ScalarTypeEi: ; @_ZN2at6native6invokeIZZZNS0_12_GLOBAL__N_121bessel_y1_kernel_cudaERNS_18TensorIteratorBaseEENKUlvE_clEvENKUlvE0_clEvEUlfE_i15function_traitsIS7_EEENT1_11result_typeERKT_PrKPcPKT0_PKN3c1010ScalarTypeEi
; %bb.0:
	s_waitcnt vmcnt(0) expcnt(0) lgkmcnt(0)
	v_mul_lo_u32 v2, v4, v2
	v_mov_b32_e32 v5, 10
	s_mov_b32 s5, 0
	v_cmp_gt_i16_sdwa s4, v3, v5 src0_sel:BYTE_0 src1_sel:DWORD
	v_ashrrev_i32_e32 v4, 31, v2
	v_add_co_u32 v0, vcc_lo, v0, v2
                                        ; implicit-def: $vgpr2
	v_add_co_ci_u32_e64 v1, null, v1, v4, vcc_lo
	s_and_saveexec_b32 s6, s4
	s_xor_b32 s4, exec_lo, s6
	s_cbranch_execz .LBB20_49
; %bb.1:
	v_mov_b32_e32 v2, 25
	s_mov_b32 s8, 0
	s_mov_b32 s7, 0
	v_cmp_gt_i16_sdwa s6, v3, v2 src0_sel:BYTE_0 src1_sel:DWORD
                                        ; implicit-def: $vgpr2
	s_and_saveexec_b32 s9, s6
	s_xor_b32 s6, exec_lo, s9
	s_cbranch_execz .LBB20_92
; %bb.2:
	v_mov_b32_e32 v2, 28
	s_mov_b32 s9, 0
	v_cmp_gt_i16_sdwa s7, v3, v2 src0_sel:BYTE_0 src1_sel:DWORD
                                        ; implicit-def: $vgpr2
	s_and_saveexec_b32 s10, s7
	s_xor_b32 s7, exec_lo, s10
	s_cbranch_execz .LBB20_18
; %bb.3:
	v_mov_b32_e32 v2, 43
	s_mov_b32 s10, 0
	s_mov_b32 s11, 0
	v_cmp_gt_i16_sdwa s8, v3, v2 src0_sel:BYTE_0 src1_sel:DWORD
                                        ; implicit-def: $vgpr2
	s_and_saveexec_b32 s9, s8
	s_xor_b32 s8, exec_lo, s9
	s_cbranch_execz .LBB20_13
; %bb.4:
	v_mov_b32_e32 v2, 45
	s_mov_b32 s9, 0
	v_cmp_gt_i16_sdwa s11, v3, v2 src0_sel:BYTE_0 src1_sel:DWORD
                                        ; implicit-def: $vgpr2
	s_and_saveexec_b32 s12, s11
	s_xor_b32 s11, exec_lo, s12
	s_cbranch_execz .LBB20_8
; %bb.5:
	v_mov_b32_e32 v2, 46
	s_mov_b32 s12, -1
	v_cmp_eq_u16_sdwa s13, v3, v2 src0_sel:BYTE_0 src1_sel:DWORD
                                        ; implicit-def: $vgpr2
	s_and_saveexec_b32 s10, s13
	s_cbranch_execz .LBB20_7
; %bb.6:
	flat_load_dword v2, v[0:1]
	s_mov_b32 s9, exec_lo
	s_xor_b32 s12, exec_lo, -1
	s_waitcnt vmcnt(0) lgkmcnt(0)
	v_lshlrev_b32_e32 v2, 16, v2
.LBB20_7:
	s_or_b32 exec_lo, exec_lo, s10
	s_and_b32 s10, s9, exec_lo
	s_and_b32 s9, s12, exec_lo
                                        ; implicit-def: $vgpr3
.LBB20_8:
	s_andn2_saveexec_b32 s11, s11
	s_cbranch_execz .LBB20_12
; %bb.9:
	v_mov_b32_e32 v2, 44
	s_mov_b32 s12, -1
	s_mov_b32 s14, s10
	v_cmp_eq_u16_sdwa s15, v3, v2 src0_sel:BYTE_0 src1_sel:DWORD
                                        ; implicit-def: $vgpr2
	s_and_saveexec_b32 s13, s15
	s_cbranch_execz .LBB20_11
; %bb.10:
	flat_load_ubyte v2, v[0:1]
	s_or_b32 s14, s10, exec_lo
	s_xor_b32 s12, exec_lo, -1
	s_waitcnt vmcnt(0) lgkmcnt(0)
	v_lshlrev_b32_e32 v3, 23, v2
	v_cmp_ne_u32_e32 vcc_lo, 0xff, v2
	v_cndmask_b32_e32 v3, 0x7f800001, v3, vcc_lo
	v_cmp_ne_u32_e32 vcc_lo, 0, v2
	v_cndmask_b32_e32 v2, 0x400000, v3, vcc_lo
.LBB20_11:
	s_or_b32 exec_lo, exec_lo, s13
	s_andn2_b32 s10, s10, exec_lo
	s_and_b32 s13, s14, exec_lo
	s_andn2_b32 s9, s9, exec_lo
	s_and_b32 s12, s12, exec_lo
	s_or_b32 s10, s10, s13
	s_or_b32 s9, s9, s12
.LBB20_12:
	s_or_b32 exec_lo, exec_lo, s11
	s_and_b32 s11, s10, exec_lo
	s_and_b32 s10, s9, exec_lo
                                        ; implicit-def: $vgpr3
.LBB20_13:
	s_andn2_saveexec_b32 s8, s8
	s_cbranch_execz .LBB20_17
; %bb.14:
	v_mov_b32_e32 v2, 29
	s_mov_b32 s9, -1
	s_mov_b32 s13, s11
	v_cmp_eq_u16_sdwa s14, v3, v2 src0_sel:BYTE_0 src1_sel:DWORD
                                        ; implicit-def: $vgpr2
	s_and_saveexec_b32 s12, s14
	s_cbranch_execz .LBB20_16
; %bb.15:
	flat_load_dwordx2 v[2:3], v[0:1]
	s_or_b32 s13, s11, exec_lo
	s_xor_b32 s9, exec_lo, -1
	s_waitcnt vmcnt(0) lgkmcnt(0)
	v_ffbh_u32_e32 v4, v3
	v_min_u32_e32 v4, 32, v4
	v_lshlrev_b64 v[2:3], v4, v[2:3]
	v_min_u32_e32 v2, 1, v2
	v_or_b32_e32 v2, v3, v2
	v_sub_nc_u32_e32 v3, 32, v4
	v_cvt_f32_u32_e32 v2, v2
	v_ldexp_f32 v2, v2, v3
.LBB20_16:
	s_or_b32 exec_lo, exec_lo, s12
	s_andn2_b32 s11, s11, exec_lo
	s_and_b32 s12, s13, exec_lo
	s_andn2_b32 s10, s10, exec_lo
	s_and_b32 s9, s9, exec_lo
	s_or_b32 s11, s11, s12
	s_or_b32 s10, s10, s9
.LBB20_17:
	s_or_b32 exec_lo, exec_lo, s8
	s_and_b32 s9, s11, exec_lo
	s_and_b32 s8, s10, exec_lo
                                        ; implicit-def: $vgpr3
.LBB20_18:
	s_andn2_saveexec_b32 s7, s7
	s_cbranch_execz .LBB20_34
; %bb.19:
	v_mov_b32_e32 v2, 26
	v_cmp_gt_i16_sdwa s10, v3, v2 src0_sel:BYTE_0 src1_sel:DWORD
                                        ; implicit-def: $vgpr2
	s_and_saveexec_b32 s11, s10
	s_xor_b32 s10, exec_lo, s11
	s_cbranch_execz .LBB20_25
; %bb.20:
	v_mov_b32_e32 v2, 27
	v_cmp_gt_i16_sdwa s11, v3, v2 src0_sel:BYTE_0 src1_sel:DWORD
                                        ; implicit-def: $vgpr2
	s_and_saveexec_b32 s12, s11
	s_xor_b32 s11, exec_lo, s12
	s_cbranch_execz .LBB20_22
; %bb.21:
	flat_load_dword v2, v[0:1]
	s_waitcnt vmcnt(0) lgkmcnt(0)
	v_cvt_f32_u32_e32 v2, v2
.LBB20_22:
	s_andn2_saveexec_b32 s11, s11
	s_cbranch_execz .LBB20_24
; %bb.23:
	flat_load_ushort v2, v[0:1]
	s_waitcnt vmcnt(0) lgkmcnt(0)
	v_cvt_f32_u32_e32 v2, v2
.LBB20_24:
	s_or_b32 exec_lo, exec_lo, s11
.LBB20_25:
	s_andn2_saveexec_b32 s10, s10
	s_cbranch_execz .LBB20_33
; %bb.26:
	flat_load_ubyte v3, v[0:1]
	s_mov_b32 s11, 0
	s_mov_b32 s12, exec_lo
	s_waitcnt vmcnt(0) lgkmcnt(0)
	v_cmpx_lt_i16_e32 0x7f, v3
	s_xor_b32 s12, exec_lo, s12
	s_cbranch_execz .LBB20_127
; %bb.27:
	s_mov_b32 s11, -1
	s_mov_b32 s13, exec_lo
	v_cmpx_eq_u16_e32 0x80, v3
; %bb.28:
	s_xor_b32 s11, exec_lo, -1
; %bb.29:
	s_or_b32 exec_lo, exec_lo, s13
	s_and_b32 s11, s11, exec_lo
	s_or_saveexec_b32 s12, s12
	v_mov_b32_e32 v2, 0x7f800001
	s_xor_b32 exec_lo, exec_lo, s12
	s_cbranch_execnz .LBB20_128
.LBB20_30:
	s_or_b32 exec_lo, exec_lo, s12
	s_and_saveexec_b32 s12, s11
	s_cbranch_execz .LBB20_32
.LBB20_31:
	v_and_b32_e32 v2, 0xffff, v3
	v_lshlrev_b32_e32 v3, 24, v3
	v_and_b32_e32 v4, 7, v2
	v_bfe_u32 v7, v2, 3, 4
	v_and_b32_e32 v3, 0x80000000, v3
	v_ffbh_u32_e32 v5, v4
	v_cmp_eq_u32_e32 vcc_lo, 0, v7
	v_min_u32_e32 v5, 32, v5
	v_subrev_nc_u32_e32 v6, 28, v5
	v_sub_nc_u32_e32 v5, 29, v5
	v_lshlrev_b32_e32 v2, v6, v2
	v_cndmask_b32_e32 v5, v7, v5, vcc_lo
	v_and_b32_e32 v2, 7, v2
	v_cndmask_b32_e32 v2, v4, v2, vcc_lo
	v_lshl_add_u32 v4, v5, 23, 0x3b800000
	v_lshlrev_b32_e32 v2, 20, v2
	v_or3_b32 v2, v3, v4, v2
.LBB20_32:
	s_or_b32 exec_lo, exec_lo, s12
.LBB20_33:
	s_or_b32 exec_lo, exec_lo, s10
	s_or_b32 s9, s9, exec_lo
.LBB20_34:
	s_or_b32 exec_lo, exec_lo, s7
	s_and_b32 s7, s9, exec_lo
	s_and_b32 s8, s8, exec_lo
                                        ; implicit-def: $vgpr3
	s_andn2_saveexec_b32 s6, s6
	s_cbranch_execnz .LBB20_93
.LBB20_35:
	s_or_b32 exec_lo, exec_lo, s6
	s_and_saveexec_b32 s6, s8
	s_cbranch_execnz .LBB20_118
.LBB20_36:
	s_or_b32 exec_lo, exec_lo, s6
	s_and_saveexec_b32 s6, s5
	s_xor_b32 s5, exec_lo, s6
	s_cbranch_execz .LBB20_38
.LBB20_37:
	flat_load_ubyte v0, v[0:1]
	s_or_b32 s7, s7, exec_lo
	s_waitcnt vmcnt(0) lgkmcnt(0)
	v_cmp_ne_u16_e32 vcc_lo, 0, v0
	v_cndmask_b32_e64 v2, 0, 1.0, vcc_lo
.LBB20_38:
	s_or_b32 exec_lo, exec_lo, s5
	s_and_b32 s5, s7, exec_lo
                                        ; implicit-def: $vgpr3
                                        ; implicit-def: $vgpr0_vgpr1
	s_andn2_saveexec_b32 s4, s4
	s_cbranch_execnz .LBB20_50
.LBB20_39:
	s_or_b32 exec_lo, exec_lo, s4
                                        ; implicit-def: $vgpr0
	s_and_saveexec_b32 s7, s5
	s_cbranch_execz .LBB20_91
.LBB20_40:
                                        ; implicit-def: $vgpr0
	s_mov_b32 s4, exec_lo
	s_waitcnt vmcnt(0) lgkmcnt(0)
	v_cmpx_ge_f32_e32 0x40a00000, v2
	s_xor_b32 s8, exec_lo, s4
	s_cbranch_execz .LBB20_46
; %bb.41:
	v_mov_b32_e32 v0, 0xff800000
	s_mov_b32 s9, exec_lo
	v_cmpx_neq_f32_e32 0, v2
	s_cbranch_execz .LBB20_45
; %bb.42:
	v_mov_b32_e32 v0, 0x7fc00000
	s_mov_b32 s10, exec_lo
	v_cmpx_nge_f32_e32 0, v2
	s_cbranch_execz .LBB20_44
; %bb.43:
	v_mul_f32_e32 v0, v2, v2
	v_cmp_gt_f32_e64 s4, 0x800000, v2
	v_div_scale_f32 v10, null, v2, v2, -1.0
	v_div_scale_f32 v19, s6, -1.0, v2, -1.0
	v_fmaak_f32 v1, 0, v0, 0x4414934d
	v_fmaak_f32 v3, 0, v0, 0x441b3589
	;; [unrolled: 1-line block ×4, first 2 shown]
	v_cndmask_b32_e64 v9, 0, 32, s4
	v_fmaak_f32 v1, v0, v1, 0x48660b06
	v_fmaak_f32 v3, v0, v3, 0x487af6d0
	;; [unrolled: 1-line block ×4, first 2 shown]
	v_rcp_f32_e32 v11, v10
	v_fmaak_f32 v1, v0, v1, 0x4c8c277d
	v_fmaak_f32 v3, v0, v3, 0x4c9f4aa7
	;; [unrolled: 1-line block ×4, first 2 shown]
	v_ldexp_f32 v9, v2, v9
	v_fmaak_f32 v1, v0, v1, 0x508bc61d
	v_fmaak_f32 v3, v0, v3, 0x50a509fc
	;; [unrolled: 1-line block ×4, first 2 shown]
	v_log_f32_e32 v9, v9
	v_fmaak_f32 v1, v0, v1, 0x5461faf8
	v_fmaak_f32 v3, v0, v3, 0x548a37dc
	;; [unrolled: 1-line block ×3, first 2 shown]
	v_fma_f32 v16, -v10, v11, 1.0
	v_fmaak_f32 v1, v0, v1, 0x580d1937
	v_fmaak_f32 v3, v0, v3, 0x58325852
	v_fmaak_f32 v4, v0, v4, 0xdd2cf20b
	v_fmac_f32_e32 v11, v16, v11
	v_mul_f32_e32 v20, 0x3f317217, v9
	v_fmaak_f32 v1, v0, v1, 0x5b741f1e
	v_fmaak_f32 v3, v0, v3, 0x5b9f0600
	v_fma_f32 v16, 0x3f317217, v9, -v20
	v_fmaak_f32 v1, v0, v1, 0x5e5c878d
	v_fmaak_f32 v0, v0, v3, 0x5e93bcac
	v_div_scale_f32 v3, null, v1, v1, v4
	v_div_scale_f32 v6, null, v0, v0, v5
	v_div_scale_f32 v14, vcc_lo, v4, v1, v4
	v_rcp_f32_e32 v7, v3
	v_rcp_f32_e32 v8, v6
	v_div_scale_f32 v15, s5, v5, v0, v5
	v_fma_f32 v12, -v3, v7, 1.0
	v_fma_f32 v13, -v6, v8, 1.0
	v_fmac_f32_e32 v7, v12, v7
	v_fmac_f32_e32 v8, v13, v8
	v_mul_f32_e32 v12, v14, v7
	v_mul_f32_e32 v13, v15, v8
	v_fma_f32 v17, -v3, v12, v14
	v_fma_f32 v18, -v6, v13, v15
	v_fmac_f32_e32 v12, v17, v7
	v_fmac_f32_e32 v13, v18, v8
	v_fma_f32 v3, -v3, v12, v14
	v_mul_f32_e32 v14, v19, v11
	v_fma_f32 v6, -v6, v13, v15
	v_div_fmas_f32 v3, v3, v7, v12
	s_mov_b32 vcc_lo, s5
	v_fma_f32 v7, -v10, v14, v19
	v_div_fmas_f32 v6, v6, v8, v13
	v_fmamk_f32 v8, v9, 0x3377d1cf, v16
	v_cmp_gt_f32_e64 vcc_lo, 0x7f800000, |v9|
	v_div_fixup_f32 v1, v3, v1, v4
	v_fmac_f32_e32 v14, v7, v11
	v_div_fixup_f32 v0, v6, v0, v5
	v_fmac_f32_e32 v8, 0x3f317217, v9
	v_fmaak_f32 v5, v2, v2, 0xc16ae95a
	v_fmaak_f32 v6, v2, v2, 0xc244dfb3
	v_fma_f32 v10, -v10, v14, v19
	v_mul_f32_e32 v0, v2, v0
	v_cndmask_b32_e32 v8, v9, v8, vcc_lo
	s_mov_b32 vcc_lo, s6
	v_cndmask_b32_e64 v7, 0, 0x41b17218, s4
	v_mul_f32_e32 v0, v5, v0
	v_div_fmas_f32 v5, v10, v11, v14
	v_sub_f32_e32 v7, v8, v7
	v_mul_f32_e32 v0, v6, v0
	v_div_fixup_f32 v5, v5, v2, -1.0
	v_fmac_f32_e32 v5, v7, v0
	v_mul_f32_e32 v0, 0x3f22f983, v5
	v_fmac_f32_e32 v0, v2, v1
.LBB20_44:
	s_or_b32 exec_lo, exec_lo, s10
.LBB20_45:
	s_or_b32 exec_lo, exec_lo, s9
                                        ; implicit-def: $vgpr2
.LBB20_46:
	s_andn2_saveexec_b32 s8, s8
	s_cbranch_execz .LBB20_126
; %bb.47:
	v_add_f32_e32 v0, 0xc016cbe4, v2
                                        ; implicit-def: $vgpr4
                                        ; implicit-def: $vgpr3
	v_and_b32_e32 v1, 0x7fffffff, v0
	v_cmp_ngt_f32_e64 s6, 0x48000000, |v0|
	v_lshrrev_b32_e32 v6, 23, v1
	s_and_saveexec_b32 s4, s6
	s_xor_b32 s9, exec_lo, s4
	s_cbranch_execz .LBB20_119
; %bb.48:
	s_mov_b32 s4, 0x7fffff
	v_mov_b32_e32 v5, 0
	v_and_or_b32 v13, v1, s4, 0x800000
	v_add_nc_u32_e32 v12, 0xffffff88, v6
	v_mad_u64_u32 v[3:4], null, 0xfe5163ab, v13, 0
	v_cmp_lt_u32_e32 vcc_lo, 63, v12
	v_cndmask_b32_e64 v14, 0, 0xffffffc0, vcc_lo
	v_mad_u64_u32 v[7:8], null, 0x3c439041, v13, v[4:5]
	v_add_nc_u32_e32 v14, v14, v12
	v_mov_b32_e32 v4, v8
	v_cmp_lt_u32_e64 s4, 31, v14
	v_mad_u64_u32 v[8:9], null, 0xdb629599, v13, v[4:5]
	v_cndmask_b32_e64 v15, 0, 0xffffffe0, s4
	v_mov_b32_e32 v4, v9
	v_cndmask_b32_e32 v3, v8, v3, vcc_lo
	v_mad_u64_u32 v[9:10], null, 0xf534ddc0, v13, v[4:5]
	v_mov_b32_e32 v4, v10
	v_cndmask_b32_e32 v7, v9, v7, vcc_lo
	v_mad_u64_u32 v[10:11], null, 0xfc2757d1, v13, v[4:5]
	v_cndmask_b32_e64 v3, v7, v3, s4
	v_mov_b32_e32 v4, v11
	v_mad_u64_u32 v[11:12], null, 0x4e441529, v13, v[4:5]
	v_mov_b32_e32 v4, v12
	v_add_nc_u32_e32 v12, v15, v14
	v_cndmask_b32_e32 v14, v11, v9, vcc_lo
	v_mad_u64_u32 v[4:5], null, 0xa2f9836e, v13, v[4:5]
	v_cmp_lt_u32_e64 s5, 31, v12
	v_cndmask_b32_e64 v13, 0, 0xffffffe0, s5
	v_cndmask_b32_e32 v4, v4, v10, vcc_lo
	v_cndmask_b32_e32 v5, v5, v11, vcc_lo
	v_cndmask_b32_e32 v10, v10, v8, vcc_lo
	v_add_nc_u32_e32 v11, v13, v12
	v_cndmask_b32_e64 v9, v4, v14, s4
	v_cndmask_b32_e64 v4, v5, v4, s4
	;; [unrolled: 1-line block ×4, first 2 shown]
	v_sub_nc_u32_e32 v12, 32, v11
	v_cmp_eq_u32_e32 vcc_lo, 0, v11
	v_cndmask_b32_e64 v4, v4, v9, s5
	v_cndmask_b32_e64 v9, v9, v5, s5
	;; [unrolled: 1-line block ×4, first 2 shown]
	v_alignbit_b32 v13, v4, v9, v12
	v_alignbit_b32 v8, v9, v5, v12
	;; [unrolled: 1-line block ×3, first 2 shown]
	v_cndmask_b32_e32 v4, v13, v4, vcc_lo
	v_cndmask_b32_e32 v7, v8, v9, vcc_lo
	;; [unrolled: 1-line block ×3, first 2 shown]
	v_bfe_u32 v8, v4, 29, 1
	v_alignbit_b32 v9, v4, v7, 30
	v_alignbit_b32 v7, v7, v5, 30
	;; [unrolled: 1-line block ×3, first 2 shown]
	v_sub_nc_u32_e32 v10, 0, v8
	v_xor_b32_e32 v9, v9, v10
	v_xor_b32_e32 v5, v7, v10
	;; [unrolled: 1-line block ×3, first 2 shown]
	v_lshrrev_b32_e32 v10, 29, v4
	v_lshrrev_b32_e32 v4, 30, v4
	v_ffbh_u32_e32 v11, v9
	v_add_nc_u32_e32 v4, v8, v4
	v_min_u32_e32 v11, 32, v11
	v_sub_nc_u32_e32 v7, 31, v11
	v_lshlrev_b32_e32 v12, 23, v11
	v_alignbit_b32 v9, v9, v5, v7
	v_alignbit_b32 v3, v5, v3, v7
	v_lshlrev_b32_e32 v5, 31, v10
	v_alignbit_b32 v7, v9, v3, 9
	v_or_b32_e32 v10, 0.5, v5
	v_lshrrev_b32_e32 v9, 9, v9
	v_or_b32_e32 v5, 0x33000000, v5
	v_ffbh_u32_e32 v13, v7
	v_sub_nc_u32_e32 v10, v10, v12
	v_min_u32_e32 v12, 32, v13
	v_or_b32_e32 v9, v9, v10
	v_not_b32_e32 v10, v12
	v_mul_f32_e32 v13, 0x3fc90fda, v9
	v_add_lshl_u32 v11, v12, v11, 23
	v_alignbit_b32 v3, v7, v3, v10
	v_fma_f32 v7, 0x3fc90fda, v9, -v13
	v_sub_nc_u32_e32 v5, v5, v11
	v_lshrrev_b32_e32 v3, 9, v3
	v_fmamk_f32 v7, v9, 0x33a22168, v7
	v_or_b32_e32 v3, v5, v3
	v_fmac_f32_e32 v7, 0x3fc90fda, v3
	v_add_f32_e32 v3, v13, v7
	s_or_saveexec_b32 s4, s9
	v_mul_f32_e64 v8, 0x3f22f983, |v0|
	s_xor_b32 exec_lo, exec_lo, s4
	s_branch .LBB20_120
.LBB20_49:
	s_andn2_saveexec_b32 s4, s4
	s_cbranch_execz .LBB20_39
.LBB20_50:
	v_mov_b32_e32 v2, 4
	v_cmp_gt_i16_sdwa s6, v3, v2 src0_sel:BYTE_0 src1_sel:DWORD
                                        ; implicit-def: $vgpr2
	s_and_saveexec_b32 s7, s6
	s_xor_b32 s6, exec_lo, s7
	s_cbranch_execz .LBB20_72
; %bb.51:
	v_mov_b32_e32 v2, 7
	v_cmp_gt_i16_sdwa s7, v3, v2 src0_sel:BYTE_0 src1_sel:DWORD
                                        ; implicit-def: $vgpr2
	s_and_saveexec_b32 s8, s7
	s_xor_b32 s7, exec_lo, s8
	s_cbranch_execz .LBB20_61
; %bb.52:
	;; [unrolled: 7-line block ×4, first 2 shown]
	flat_load_dwordx2 v[0:1], v[0:1]
	s_waitcnt vmcnt(0) lgkmcnt(0)
	v_cvt_f32_f64_e32 v2, v[0:1]
                                        ; implicit-def: $vgpr0_vgpr1
.LBB20_55:
	s_andn2_saveexec_b32 s9, s9
	s_cbranch_execz .LBB20_57
; %bb.56:
	flat_load_dword v2, v[0:1]
.LBB20_57:
	s_or_b32 exec_lo, exec_lo, s9
                                        ; implicit-def: $vgpr0_vgpr1
.LBB20_58:
	s_andn2_saveexec_b32 s8, s8
	s_cbranch_execz .LBB20_60
; %bb.59:
	flat_load_dword v0, v[0:1]
	s_waitcnt vmcnt(0) lgkmcnt(0)
	v_cvt_f32_f16_e32 v2, v0
.LBB20_60:
	s_or_b32 exec_lo, exec_lo, s8
                                        ; implicit-def: $vgpr0_vgpr1
                                        ; implicit-def: $vgpr3
.LBB20_61:
	s_andn2_saveexec_b32 s7, s7
	s_cbranch_execz .LBB20_71
; %bb.62:
	s_waitcnt vmcnt(0) lgkmcnt(0)
	v_mov_b32_e32 v2, 5
	v_cmp_gt_i16_sdwa s8, v3, v2 src0_sel:BYTE_0 src1_sel:DWORD
                                        ; implicit-def: $vgpr2
	s_and_saveexec_b32 s9, s8
	s_xor_b32 s8, exec_lo, s9
	s_cbranch_execz .LBB20_68
; %bb.63:
	v_mov_b32_e32 v2, 6
	v_cmp_gt_i16_sdwa s9, v3, v2 src0_sel:BYTE_0 src1_sel:DWORD
                                        ; implicit-def: $vgpr2
	s_and_saveexec_b32 s10, s9
	s_xor_b32 s9, exec_lo, s10
	s_cbranch_execz .LBB20_65
; %bb.64:
	flat_load_dwordx2 v[0:1], v[0:1]
	s_waitcnt vmcnt(0) lgkmcnt(0)
	v_cvt_f32_f64_e32 v2, v[0:1]
                                        ; implicit-def: $vgpr0_vgpr1
.LBB20_65:
	s_andn2_saveexec_b32 s9, s9
	s_cbranch_execz .LBB20_67
; %bb.66:
	flat_load_dword v2, v[0:1]
.LBB20_67:
	s_or_b32 exec_lo, exec_lo, s9
                                        ; implicit-def: $vgpr0_vgpr1
.LBB20_68:
	s_andn2_saveexec_b32 s8, s8
	s_cbranch_execz .LBB20_70
; %bb.69:
	flat_load_ushort v0, v[0:1]
	s_waitcnt vmcnt(0) lgkmcnt(0)
	v_cvt_f32_f16_e32 v2, v0
.LBB20_70:
	s_or_b32 exec_lo, exec_lo, s8
.LBB20_71:
	s_or_b32 exec_lo, exec_lo, s7
                                        ; implicit-def: $vgpr3
                                        ; implicit-def: $vgpr0_vgpr1
.LBB20_72:
	s_andn2_saveexec_b32 s6, s6
	s_cbranch_execz .LBB20_90
; %bb.73:
	s_waitcnt vmcnt(0) lgkmcnt(0)
	v_mov_b32_e32 v2, 1
	v_cmp_gt_i16_sdwa s7, v3, v2 src0_sel:BYTE_0 src1_sel:DWORD
                                        ; implicit-def: $vgpr2
	s_and_saveexec_b32 s8, s7
	s_xor_b32 s7, exec_lo, s8
	s_cbranch_execz .LBB20_83
; %bb.74:
	v_mov_b32_e32 v2, 2
	v_cmp_gt_i16_sdwa s8, v3, v2 src0_sel:BYTE_0 src1_sel:DWORD
                                        ; implicit-def: $vgpr2
	s_and_saveexec_b32 s9, s8
	s_xor_b32 s8, exec_lo, s9
	s_cbranch_execz .LBB20_80
; %bb.75:
	;; [unrolled: 7-line block ×3, first 2 shown]
	flat_load_dwordx2 v[0:1], v[0:1]
	s_waitcnt vmcnt(0) lgkmcnt(0)
	v_xor_b32_e32 v2, v0, v1
	v_ffbh_i32_e32 v3, v1
	v_ashrrev_i32_e32 v2, 31, v2
	v_add_nc_u32_e32 v3, -1, v3
	v_add_nc_u32_e32 v2, 32, v2
	v_min_u32_e32 v2, v3, v2
	v_lshlrev_b64 v[0:1], v2, v[0:1]
	v_min_u32_e32 v0, 1, v0
	v_or_b32_e32 v0, v1, v0
	v_sub_nc_u32_e32 v1, 32, v2
	v_cvt_f32_i32_e32 v0, v0
	v_ldexp_f32 v2, v0, v1
                                        ; implicit-def: $vgpr0_vgpr1
.LBB20_77:
	s_andn2_saveexec_b32 s9, s9
	s_cbranch_execz .LBB20_79
; %bb.78:
	flat_load_dword v0, v[0:1]
	s_waitcnt vmcnt(0) lgkmcnt(0)
	v_cvt_f32_i32_e32 v2, v0
.LBB20_79:
	s_or_b32 exec_lo, exec_lo, s9
                                        ; implicit-def: $vgpr0_vgpr1
.LBB20_80:
	s_andn2_saveexec_b32 s8, s8
	s_cbranch_execz .LBB20_82
; %bb.81:
	flat_load_sshort v0, v[0:1]
	s_waitcnt vmcnt(0) lgkmcnt(0)
	v_cvt_f32_i32_e32 v2, v0
.LBB20_82:
	s_or_b32 exec_lo, exec_lo, s8
                                        ; implicit-def: $vgpr0_vgpr1
                                        ; implicit-def: $vgpr3
.LBB20_83:
	s_andn2_saveexec_b32 s7, s7
	s_cbranch_execz .LBB20_89
; %bb.84:
	v_mov_b32_e32 v2, 0
	v_cmp_gt_i16_sdwa s8, v3, v2 src0_sel:BYTE_0 src1_sel:DWORD
                                        ; implicit-def: $vgpr2
	s_and_saveexec_b32 s9, s8
	s_xor_b32 s8, exec_lo, s9
	s_cbranch_execz .LBB20_86
; %bb.85:
	flat_load_sbyte v0, v[0:1]
	s_waitcnt vmcnt(0) lgkmcnt(0)
	v_cvt_f32_i32_e32 v2, v0
                                        ; implicit-def: $vgpr0_vgpr1
.LBB20_86:
	s_andn2_saveexec_b32 s8, s8
	s_cbranch_execz .LBB20_88
; %bb.87:
	flat_load_ubyte v0, v[0:1]
	s_waitcnt vmcnt(0) lgkmcnt(0)
	v_cvt_f32_ubyte0_e32 v2, v0
.LBB20_88:
	s_or_b32 exec_lo, exec_lo, s8
.LBB20_89:
	s_or_b32 exec_lo, exec_lo, s7
.LBB20_90:
	s_or_b32 exec_lo, exec_lo, s6
	s_or_b32 s5, s5, exec_lo
	s_or_b32 exec_lo, exec_lo, s4
                                        ; implicit-def: $vgpr0
	s_and_saveexec_b32 s7, s5
	s_cbranch_execnz .LBB20_40
.LBB20_91:
	s_or_b32 exec_lo, exec_lo, s7
	s_waitcnt vmcnt(0) lgkmcnt(0)
	s_setpc_b64 s[30:31]
.LBB20_92:
	s_andn2_saveexec_b32 s6, s6
	s_cbranch_execz .LBB20_35
.LBB20_93:
	v_mov_b32_e32 v2, 22
	s_mov_b32 s9, s7
	v_cmp_gt_i16_sdwa s5, v3, v2 src0_sel:BYTE_0 src1_sel:DWORD
                                        ; implicit-def: $vgpr2
	s_and_saveexec_b32 s10, s5
	s_xor_b32 s5, exec_lo, s10
	s_cbranch_execz .LBB20_109
; %bb.94:
	v_mov_b32_e32 v2, 23
	v_cmp_gt_i16_sdwa s9, v3, v2 src0_sel:BYTE_0 src1_sel:DWORD
                                        ; implicit-def: $vgpr2
	s_and_saveexec_b32 s10, s9
	s_xor_b32 s9, exec_lo, s10
	s_cbranch_execz .LBB20_106
; %bb.95:
	v_mov_b32_e32 v2, 24
	v_cmp_gt_i16_sdwa s10, v3, v2 src0_sel:BYTE_0 src1_sel:DWORD
                                        ; implicit-def: $vgpr2
	s_and_saveexec_b32 s11, s10
	s_xor_b32 s10, exec_lo, s11
	s_cbranch_execz .LBB20_103
; %bb.96:
	flat_load_ubyte v3, v[0:1]
	s_mov_b32 s11, 0
	s_mov_b32 s12, exec_lo
	s_waitcnt vmcnt(0) lgkmcnt(0)
	v_cmpx_lt_i16_e32 0x7f, v3
	s_xor_b32 s12, exec_lo, s12
	s_cbranch_execz .LBB20_129
; %bb.97:
	s_mov_b32 s11, -1
	s_mov_b32 s13, exec_lo
	v_cmpx_eq_u16_e32 0x80, v3
; %bb.98:
	s_xor_b32 s11, exec_lo, -1
; %bb.99:
	s_or_b32 exec_lo, exec_lo, s13
	s_and_b32 s11, s11, exec_lo
	s_or_saveexec_b32 s12, s12
	v_mov_b32_e32 v2, 0x7f800001
	s_xor_b32 exec_lo, exec_lo, s12
	s_cbranch_execnz .LBB20_130
.LBB20_100:
	s_or_b32 exec_lo, exec_lo, s12
	s_and_saveexec_b32 s12, s11
	s_cbranch_execz .LBB20_102
.LBB20_101:
	v_and_b32_e32 v2, 0xffff, v3
	v_lshlrev_b32_e32 v3, 24, v3
	v_and_b32_e32 v4, 3, v2
	v_bfe_u32 v7, v2, 2, 5
	v_and_b32_e32 v3, 0x80000000, v3
	v_ffbh_u32_e32 v5, v4
	v_cmp_eq_u32_e32 vcc_lo, 0, v7
	v_min_u32_e32 v5, 32, v5
	v_subrev_nc_u32_e32 v6, 29, v5
	v_sub_nc_u32_e32 v5, 30, v5
	v_lshlrev_b32_e32 v2, v6, v2
	v_cndmask_b32_e32 v5, v7, v5, vcc_lo
	v_and_b32_e32 v2, 3, v2
	v_cndmask_b32_e32 v2, v4, v2, vcc_lo
	v_lshl_add_u32 v4, v5, 23, 0x37800000
	v_lshlrev_b32_e32 v2, 21, v2
	v_or3_b32 v2, v3, v4, v2
.LBB20_102:
	s_or_b32 exec_lo, exec_lo, s12
.LBB20_103:
	s_andn2_saveexec_b32 s10, s10
	s_cbranch_execz .LBB20_105
; %bb.104:
	flat_load_ubyte v2, v[0:1]
	s_waitcnt vmcnt(0) lgkmcnt(0)
	v_lshlrev_b32_e32 v2, 24, v2
	v_and_b32_e32 v3, 0x7f000000, v2
	v_ffbh_u32_e32 v4, v3
	v_add_nc_u32_e32 v6, 0x1000000, v3
	v_cmp_ne_u32_e32 vcc_lo, 0, v3
	v_min_u32_e32 v4, 32, v4
	v_sub_nc_u32_e64 v4, v4, 4 clamp
	v_lshlrev_b32_e32 v5, v4, v3
	v_lshlrev_b32_e32 v4, 23, v4
	v_lshrrev_b32_e32 v5, 4, v5
	v_sub_nc_u32_e32 v4, v5, v4
	v_ashrrev_i32_e32 v5, 8, v6
	v_add_nc_u32_e32 v4, 0x3c000000, v4
	v_and_or_b32 v4, 0x7f800000, v5, v4
	v_cndmask_b32_e32 v3, 0, v4, vcc_lo
	v_and_or_b32 v2, 0x80000000, v2, v3
.LBB20_105:
	s_or_b32 exec_lo, exec_lo, s10
.LBB20_106:
	s_andn2_saveexec_b32 s9, s9
	s_cbranch_execz .LBB20_108
; %bb.107:
	flat_load_ubyte v2, v[0:1]
	s_waitcnt vmcnt(0) lgkmcnt(0)
	v_lshlrev_b32_e32 v3, 25, v2
	v_lshlrev_b16 v2, 8, v2
	v_lshrrev_b32_e32 v4, 4, v3
	v_and_or_b32 v5, 0x7f00, v2, 0.5
	v_cmp_gt_u32_e32 vcc_lo, 0x8000000, v3
	v_bfe_i32 v2, v2, 0, 16
	v_or_b32_e32 v4, 0x70000000, v4
	v_add_f32_e32 v5, -0.5, v5
	v_mul_f32_e32 v4, 0x7800000, v4
	v_cndmask_b32_e32 v3, v4, v5, vcc_lo
	v_and_or_b32 v2, 0x80000000, v2, v3
.LBB20_108:
	s_or_b32 exec_lo, exec_lo, s9
	s_or_b32 s9, s7, exec_lo
                                        ; implicit-def: $vgpr3
.LBB20_109:
	s_or_saveexec_b32 s5, s5
	s_mov_b32 s10, 0
	s_mov_b32 s11, s8
	s_xor_b32 exec_lo, exec_lo, s5
	s_cbranch_execz .LBB20_117
; %bb.110:
	v_mov_b32_e32 v2, 14
	s_mov_b32 s10, s8
	s_mov_b32 s11, s9
	v_cmp_gt_i16_sdwa s12, v3, v2 src0_sel:BYTE_0 src1_sel:DWORD
                                        ; implicit-def: $vgpr2
	s_and_saveexec_b32 s13, s12
	s_xor_b32 s12, exec_lo, s13
	s_cbranch_execz .LBB20_114
; %bb.111:
	v_mov_b32_e32 v2, 15
	s_mov_b32 s10, -1
	s_mov_b32 s11, s9
	v_cmp_eq_u16_sdwa s14, v3, v2 src0_sel:BYTE_0 src1_sel:DWORD
                                        ; implicit-def: $vgpr2
	s_and_saveexec_b32 s13, s14
	s_cbranch_execz .LBB20_113
; %bb.112:
	flat_load_ushort v2, v[0:1]
	s_or_b32 s11, s9, exec_lo
	s_xor_b32 s10, exec_lo, -1
	s_waitcnt vmcnt(0) lgkmcnt(0)
	v_lshlrev_b32_e32 v2, 16, v2
.LBB20_113:
	s_or_b32 exec_lo, exec_lo, s13
	s_andn2_b32 s13, s9, exec_lo
	s_and_b32 s11, s11, exec_lo
	s_andn2_b32 s14, s8, exec_lo
	s_and_b32 s10, s10, exec_lo
	s_or_b32 s11, s13, s11
	s_or_b32 s10, s14, s10
                                        ; implicit-def: $vgpr3
.LBB20_114:
	s_or_saveexec_b32 s12, s12
	s_mov_b32 s13, 0
	s_xor_b32 exec_lo, exec_lo, s12
; %bb.115:
	v_mov_b32_e32 v4, 11
	s_andn2_b32 s10, s10, exec_lo
	s_mov_b32 s13, exec_lo
	v_cmp_ne_u16_sdwa s14, v3, v4 src0_sel:BYTE_0 src1_sel:DWORD
	s_and_b32 s14, s14, exec_lo
	s_or_b32 s10, s10, s14
; %bb.116:
	s_or_b32 exec_lo, exec_lo, s12
	s_andn2_b32 s9, s9, exec_lo
	s_and_b32 s11, s11, exec_lo
	s_and_b32 s12, s10, exec_lo
	s_or_b32 s9, s9, s11
	s_andn2_b32 s11, s8, exec_lo
	s_and_b32 s10, s13, exec_lo
	s_or_b32 s11, s11, s12
.LBB20_117:
	s_or_b32 exec_lo, exec_lo, s5
	s_andn2_b32 s5, s7, exec_lo
	s_and_b32 s7, s9, exec_lo
	s_andn2_b32 s8, s8, exec_lo
	s_and_b32 s9, s11, exec_lo
	s_or_b32 s7, s5, s7
	s_and_b32 s5, s10, exec_lo
	s_or_b32 s8, s8, s9
	s_or_b32 exec_lo, exec_lo, s6
	s_and_saveexec_b32 s6, s8
	s_cbranch_execz .LBB20_36
.LBB20_118:
	s_trap 2
	; divergent unreachable
	s_andn2_b32 s5, s5, exec_lo
	s_or_b32 exec_lo, exec_lo, s6
	s_and_saveexec_b32 s6, s5
	s_xor_b32 s5, exec_lo, s6
	s_cbranch_execnz .LBB20_37
	s_branch .LBB20_38
.LBB20_119:
	s_or_saveexec_b32 s4, s9
	v_mul_f32_e64 v8, 0x3f22f983, |v0|
	s_xor_b32 exec_lo, exec_lo, s4
.LBB20_120:
	v_rndne_f32_e32 v4, v8
	v_fma_f32 v3, 0xbfc90fda, v4, |v0|
	v_fmamk_f32 v3, v4, 0xb3a22168, v3
	v_fmamk_f32 v3, v4, 0xa7c234c4, v3
	v_cvt_i32_f32_e32 v4, v4
; %bb.121:
	s_or_b32 exec_lo, exec_lo, s4
                                        ; implicit-def: $vgpr7
                                        ; implicit-def: $vgpr5
	s_and_saveexec_b32 s4, s6
	s_xor_b32 s6, exec_lo, s4
	s_cbranch_execz .LBB20_123
; %bb.122:
	s_mov_b32 s4, 0x7fffff
	v_mov_b32_e32 v9, 0
	v_and_or_b32 v15, v1, s4, 0x800000
	v_mad_u64_u32 v[7:8], null, 0xfe5163ab, v15, 0
	v_mad_u64_u32 v[10:11], null, 0x3c439041, v15, v[8:9]
	v_mov_b32_e32 v8, v11
	v_mad_u64_u32 v[11:12], null, 0xdb629599, v15, v[8:9]
	v_mov_b32_e32 v8, v12
	;; [unrolled: 2-line block ×3, first 2 shown]
	v_add_nc_u32_e32 v13, 0xffffff88, v6
	v_mad_u64_u32 v[5:6], null, 0xfc2757d1, v15, v[8:9]
	v_cmp_lt_u32_e32 vcc_lo, 63, v13
	v_cndmask_b32_e64 v14, 0, 0xffffffc0, vcc_lo
	v_mov_b32_e32 v8, v6
	v_cndmask_b32_e32 v10, v12, v10, vcc_lo
	v_cndmask_b32_e32 v7, v11, v7, vcc_lo
	v_add_nc_u32_e32 v6, v14, v13
	v_mad_u64_u32 v[13:14], null, 0x4e441529, v15, v[8:9]
	v_cmp_lt_u32_e64 s4, 31, v6
	v_mov_b32_e32 v8, v14
	v_cndmask_b32_e64 v16, 0, 0xffffffe0, s4
	v_cndmask_b32_e64 v7, v10, v7, s4
	v_mad_u64_u32 v[8:9], null, 0xa2f9836e, v15, v[8:9]
	v_add_nc_u32_e32 v6, v16, v6
	v_cndmask_b32_e32 v15, v13, v12, vcc_lo
	v_cmp_lt_u32_e64 s5, 31, v6
	v_cndmask_b32_e32 v8, v8, v5, vcc_lo
	v_cndmask_b32_e32 v9, v9, v13, vcc_lo
	;; [unrolled: 1-line block ×3, first 2 shown]
	v_cndmask_b32_e64 v14, 0, 0xffffffe0, s5
	v_cndmask_b32_e64 v12, v8, v15, s4
	;; [unrolled: 1-line block ×5, first 2 shown]
	v_add_nc_u32_e32 v6, v14, v6
	v_cndmask_b32_e64 v8, v8, v12, s5
	v_cndmask_b32_e64 v12, v12, v9, s5
	v_cndmask_b32_e64 v9, v9, v5, s5
	v_sub_nc_u32_e32 v13, 32, v6
	v_cmp_eq_u32_e32 vcc_lo, 0, v6
	v_cndmask_b32_e64 v5, v5, v7, s5
	v_alignbit_b32 v14, v8, v12, v13
	v_alignbit_b32 v11, v12, v9, v13
	v_cndmask_b32_e32 v6, v14, v8, vcc_lo
	v_cndmask_b32_e32 v8, v11, v12, vcc_lo
	v_alignbit_b32 v12, v9, v5, v13
	v_bfe_u32 v10, v6, 29, 1
	v_alignbit_b32 v7, v6, v8, 30
	v_cndmask_b32_e32 v9, v12, v9, vcc_lo
	v_sub_nc_u32_e32 v11, 0, v10
	v_alignbit_b32 v8, v8, v9, 30
	v_alignbit_b32 v5, v9, v5, 30
	v_xor_b32_e32 v7, v7, v11
	v_xor_b32_e32 v8, v8, v11
	;; [unrolled: 1-line block ×3, first 2 shown]
	v_lshrrev_b32_e32 v11, 29, v6
	v_ffbh_u32_e32 v12, v7
	v_lshrrev_b32_e32 v6, 30, v6
	v_min_u32_e32 v12, 32, v12
	v_sub_nc_u32_e32 v9, 31, v12
	v_lshlrev_b32_e32 v13, 23, v12
	v_alignbit_b32 v7, v7, v8, v9
	v_alignbit_b32 v5, v8, v5, v9
	v_lshlrev_b32_e32 v8, 31, v11
	v_alignbit_b32 v9, v7, v5, 9
	v_or_b32_e32 v11, 0.5, v8
	v_lshrrev_b32_e32 v7, 9, v7
	v_or_b32_e32 v8, 0x33000000, v8
	v_ffbh_u32_e32 v14, v9
	v_sub_nc_u32_e32 v11, v11, v13
	v_min_u32_e32 v13, 32, v14
	v_or_b32_e32 v7, v7, v11
	v_not_b32_e32 v11, v13
	v_mul_f32_e32 v14, 0x3fc90fda, v7
	v_add_lshl_u32 v12, v13, v12, 23
	v_alignbit_b32 v5, v9, v5, v11
	v_fma_f32 v9, 0x3fc90fda, v7, -v14
	v_sub_nc_u32_e32 v8, v8, v12
	v_lshrrev_b32_e32 v5, 9, v5
	v_fmamk_f32 v7, v7, 0x33a22168, v9
	v_or_b32_e32 v5, v8, v5
                                        ; implicit-def: $vgpr8
	v_fmac_f32_e32 v7, 0x3fc90fda, v5
	v_add_f32_e32 v5, v14, v7
	v_add_nc_u32_e32 v7, v10, v6
	s_andn2_saveexec_b32 s4, s6
	s_cbranch_execnz .LBB20_124
	s_branch .LBB20_125
.LBB20_123:
	s_andn2_saveexec_b32 s4, s6
.LBB20_124:
	v_rndne_f32_e32 v6, v8
	v_fma_f32 v5, 0xbfc90fda, v6, |v0|
	v_cvt_i32_f32_e32 v7, v6
	v_fmamk_f32 v5, v6, 0xb3a22168, v5
	v_fmamk_f32 v5, v6, 0xa7c234c4, v5
.LBB20_125:
	s_or_b32 exec_lo, exec_lo, s4
	v_div_scale_f32 v6, null, v2, v2, 0x40a00000
	v_div_scale_f32 v10, vcc_lo, 0x40a00000, v2, 0x40a00000
	s_mov_b32 s4, 0xb94c1982
	v_rcp_f32_e32 v8, v6
	v_mul_f32_e32 v17, 0x4f800000, v2
	s_mov_b32 s5, 0x37d75334
	v_and_b32_e32 v12, 1, v7
	v_xor_b32_e32 v1, v1, v0
	v_lshlrev_b32_e32 v7, 30, v7
	v_and_b32_e32 v7, 0x80000000, v7
	v_fma_f32 v9, -v6, v8, 1.0
	v_fmac_f32_e32 v8, v9, v8
	v_mul_f32_e32 v9, v10, v8
	v_fma_f32 v11, -v6, v9, v10
	v_fmac_f32_e32 v9, v11, v8
	v_mul_f32_e32 v11, v5, v5
	v_fma_f32 v6, -v6, v9, v10
	v_fmaak_f32 v20, s4, v11, 0x3c0881c4
	v_fmaak_f32 v21, s5, v11, 0xbab64f3b
	v_div_fmas_f32 v6, v6, v8, v9
	v_mul_f32_e32 v8, v3, v3
	v_fmaak_f32 v21, v11, v21, 0x3d2aabf7
	v_and_b32_e32 v9, 1, v4
	v_fmaak_f32 v20, v11, v20, 0xbe2aaa9d
	v_div_fixup_f32 v6, v6, v2, 0x40a00000
	v_fmaak_f32 v18, s4, v8, 0x3c0881c4
	v_cmp_gt_f32_e64 s4, 0xf800000, v2
	v_fmaak_f32 v19, s5, v8, 0xbab64f3b
	v_fmaak_f32 v21, v11, v21, 0xbf000004
	v_mul_f32_e32 v10, v6, v6
	v_fmaak_f32 v18, v8, v18, 0xbe2aaa9d
	v_cndmask_b32_e64 v2, v2, v17, s4
	v_fmaak_f32 v19, v8, v19, 0x3d2aabf7
	v_mul_f32_e32 v20, v11, v20
	v_fmaak_f32 v13, 0, v10, 0x3d513fd3
	v_fmaak_f32 v14, 0, v10, 0x3a15c4d9
	;; [unrolled: 1-line block ×4, first 2 shown]
	v_mul_f32_e32 v18, v8, v18
	v_fmaak_f32 v13, v10, v13, 0x409f6dae
	v_fmaak_f32 v14, v10, v14, 0x3d8cfeeb
	;; [unrolled: 1-line block ×9, first 2 shown]
	v_fmac_f32_e32 v3, v3, v18
	v_fmaak_f32 v13, v10, v13, 0x43b763ca
	v_fmaak_f32 v14, v10, v14, 0x40a25d18
	;; [unrolled: 1-line block ×4, first 2 shown]
	v_sqrt_f32_e32 v24, v2
	v_fmaak_f32 v13, v10, v13, 0x4431b6ce
	v_fmaak_f32 v14, v10, v14, 0x410665cf
	;; [unrolled: 1-line block ×4, first 2 shown]
	v_fma_f32 v8, v8, v19, 1.0
	v_fmaak_f32 v13, v10, v13, 0x44155f56
	v_fmaak_f32 v14, v10, v14, 0x40a6b6ea
	;; [unrolled: 1-line block ×4, first 2 shown]
	v_fma_f32 v11, v11, v21, 1.0
	v_fmaak_f32 v13, v10, v13, 0x4353b052
	v_fma_f32 v14, v10, v14, 1.0
	v_fma_f32 v15, v10, v15, 1.0
	v_fmaak_f32 v16, v10, v16, 0x43a80bfb
	v_cmp_eq_u32_e64 s6, 0, v9
	v_fmaak_f32 v10, v10, v13, 0x41c9a7fa
	v_lshlrev_b32_e32 v4, 30, v4
	v_div_scale_f32 v13, null, v14, v14, v15
	v_div_scale_f32 v27, vcc_lo, v15, v14, v15
	v_div_scale_f32 v22, null, v16, v16, v10
	v_rcp_f32_e32 v17, v13
	v_fmac_f32_e32 v5, v5, v20
	v_cndmask_b32_e64 v3, v8, v3, s6
	v_rcp_f32_e32 v23, v22
	v_cmp_eq_u32_e64 s6, 0, v12
	v_and_b32_e32 v4, 0x80000000, v4
	v_add_nc_u32_e32 v20, -1, v24
	v_cndmask_b32_e64 v5, -v5, v11, s6
	v_fma_f32 v25, -v13, v17, 1.0
	v_fma_f32 v8, -v20, v24, v2
	v_xor3_b32 v1, v1, v4, v3
	v_fma_f32 v26, -v22, v23, 1.0
	v_xor_b32_e32 v5, v7, v5
	v_fmac_f32_e32 v17, v25, v17
	v_div_scale_f32 v25, s5, v10, v16, v10
	v_fmac_f32_e32 v23, v26, v23
	v_add_nc_u32_e32 v26, 1, v24
	v_mul_f32_e32 v18, v27, v17
	v_mul_f32_e32 v19, v25, v23
	v_fma_f32 v9, -v26, v24, v2
	v_fma_f32 v21, -v13, v18, v27
	;; [unrolled: 1-line block ×3, first 2 shown]
	v_fmac_f32_e32 v18, v21, v17
	v_fmac_f32_e32 v19, v28, v23
	v_fma_f32 v11, -v13, v18, v27
	v_fma_f32 v3, -v22, v19, v25
	v_div_fmas_f32 v4, v11, v17, v18
	s_mov_b32 vcc_lo, s5
	v_cmp_ge_f32_e64 s5, 0, v8
	v_div_fmas_f32 v3, v3, v23, v19
	v_cmp_class_f32_e64 vcc_lo, v0, 0x1f8
	v_div_fixup_f32 v4, v4, v14, v15
	v_cndmask_b32_e64 v0, v24, v20, s5
	v_div_fixup_f32 v3, v3, v16, v10
	v_cmp_lt_f32_e64 s5, 0, v9
	v_cndmask_b32_e32 v5, 0x7fc00000, v5, vcc_lo
	v_cndmask_b32_e32 v1, 0x7fc00000, v1, vcc_lo
	v_cmp_class_f32_e64 vcc_lo, v2, 0x260
	v_mul_f32_e32 v3, v6, v3
	v_cndmask_b32_e64 v0, v0, v26, s5
	v_mul_f32_e32 v3, v3, v5
	v_mul_f32_e32 v6, 0x37800000, v0
	v_fmac_f32_e32 v3, v4, v1
	v_cndmask_b32_e64 v0, v0, v6, s4
	v_mul_f32_e32 v1, 0x3f4c422a, v3
	v_cndmask_b32_e32 v0, v0, v2, vcc_lo
	v_div_scale_f32 v2, null, v0, v0, v1
	v_rcp_f32_e32 v3, v2
	v_fma_f32 v4, -v2, v3, 1.0
	v_fmac_f32_e32 v3, v4, v3
	v_div_scale_f32 v4, vcc_lo, v1, v0, v1
	v_mul_f32_e32 v5, v4, v3
	v_fma_f32 v6, -v2, v5, v4
	v_fmac_f32_e32 v5, v6, v3
	v_fma_f32 v2, -v2, v5, v4
	v_div_fmas_f32 v2, v2, v3, v5
	v_div_fixup_f32 v0, v2, v0, v1
.LBB20_126:
	s_or_b32 exec_lo, exec_lo, s8
	s_or_b32 exec_lo, exec_lo, s7
	s_setpc_b64 s[30:31]
.LBB20_127:
	s_or_saveexec_b32 s12, s12
	v_mov_b32_e32 v2, 0x7f800001
	s_xor_b32 exec_lo, exec_lo, s12
	s_cbranch_execz .LBB20_30
.LBB20_128:
	v_cmp_ne_u16_e32 vcc_lo, 0, v3
	v_mov_b32_e32 v2, 0
	s_andn2_b32 s11, s11, exec_lo
	s_and_b32 s13, vcc_lo, exec_lo
	s_or_b32 s11, s11, s13
	s_or_b32 exec_lo, exec_lo, s12
	s_and_saveexec_b32 s12, s11
	s_cbranch_execnz .LBB20_31
	s_branch .LBB20_32
.LBB20_129:
	s_or_saveexec_b32 s12, s12
	v_mov_b32_e32 v2, 0x7f800001
	s_xor_b32 exec_lo, exec_lo, s12
	s_cbranch_execz .LBB20_100
.LBB20_130:
	v_cmp_ne_u16_e32 vcc_lo, 0, v3
	v_mov_b32_e32 v2, 0
	s_andn2_b32 s11, s11, exec_lo
	s_and_b32 s13, vcc_lo, exec_lo
	s_or_b32 s11, s11, s13
	s_or_b32 exec_lo, exec_lo, s12
	s_and_saveexec_b32 s12, s11
	s_cbranch_execnz .LBB20_101
	s_branch .LBB20_102
.Lfunc_end20:
	.size	_ZN2at6native6invokeIZZZNS0_12_GLOBAL__N_121bessel_y1_kernel_cudaERNS_18TensorIteratorBaseEENKUlvE_clEvENKUlvE0_clEvEUlfE_i15function_traitsIS7_EEENT1_11result_typeERKT_PrKPcPKT0_PKN3c1010ScalarTypeEi, .Lfunc_end20-_ZN2at6native6invokeIZZZNS0_12_GLOBAL__N_121bessel_y1_kernel_cudaERNS_18TensorIteratorBaseEENKUlvE_clEvENKUlvE0_clEvEUlfE_i15function_traitsIS7_EEENT1_11result_typeERKT_PrKPcPKT0_PKN3c1010ScalarTypeEi
                                        ; -- End function
	.set .L_ZN2at6native6invokeIZZZNS0_12_GLOBAL__N_121bessel_y1_kernel_cudaERNS_18TensorIteratorBaseEENKUlvE_clEvENKUlvE0_clEvEUlfE_i15function_traitsIS7_EEENT1_11result_typeERKT_PrKPcPKT0_PKN3c1010ScalarTypeEi.num_vgpr, 29
	.set .L_ZN2at6native6invokeIZZZNS0_12_GLOBAL__N_121bessel_y1_kernel_cudaERNS_18TensorIteratorBaseEENKUlvE_clEvENKUlvE0_clEvEUlfE_i15function_traitsIS7_EEENT1_11result_typeERKT_PrKPcPKT0_PKN3c1010ScalarTypeEi.num_agpr, 0
	.set .L_ZN2at6native6invokeIZZZNS0_12_GLOBAL__N_121bessel_y1_kernel_cudaERNS_18TensorIteratorBaseEENKUlvE_clEvENKUlvE0_clEvEUlfE_i15function_traitsIS7_EEENT1_11result_typeERKT_PrKPcPKT0_PKN3c1010ScalarTypeEi.numbered_sgpr, 32
	.set .L_ZN2at6native6invokeIZZZNS0_12_GLOBAL__N_121bessel_y1_kernel_cudaERNS_18TensorIteratorBaseEENKUlvE_clEvENKUlvE0_clEvEUlfE_i15function_traitsIS7_EEENT1_11result_typeERKT_PrKPcPKT0_PKN3c1010ScalarTypeEi.num_named_barrier, 0
	.set .L_ZN2at6native6invokeIZZZNS0_12_GLOBAL__N_121bessel_y1_kernel_cudaERNS_18TensorIteratorBaseEENKUlvE_clEvENKUlvE0_clEvEUlfE_i15function_traitsIS7_EEENT1_11result_typeERKT_PrKPcPKT0_PKN3c1010ScalarTypeEi.private_seg_size, 0
	.set .L_ZN2at6native6invokeIZZZNS0_12_GLOBAL__N_121bessel_y1_kernel_cudaERNS_18TensorIteratorBaseEENKUlvE_clEvENKUlvE0_clEvEUlfE_i15function_traitsIS7_EEENT1_11result_typeERKT_PrKPcPKT0_PKN3c1010ScalarTypeEi.uses_vcc, 1
	.set .L_ZN2at6native6invokeIZZZNS0_12_GLOBAL__N_121bessel_y1_kernel_cudaERNS_18TensorIteratorBaseEENKUlvE_clEvENKUlvE0_clEvEUlfE_i15function_traitsIS7_EEENT1_11result_typeERKT_PrKPcPKT0_PKN3c1010ScalarTypeEi.uses_flat_scratch, 0
	.set .L_ZN2at6native6invokeIZZZNS0_12_GLOBAL__N_121bessel_y1_kernel_cudaERNS_18TensorIteratorBaseEENKUlvE_clEvENKUlvE0_clEvEUlfE_i15function_traitsIS7_EEENT1_11result_typeERKT_PrKPcPKT0_PKN3c1010ScalarTypeEi.has_dyn_sized_stack, 0
	.set .L_ZN2at6native6invokeIZZZNS0_12_GLOBAL__N_121bessel_y1_kernel_cudaERNS_18TensorIteratorBaseEENKUlvE_clEvENKUlvE0_clEvEUlfE_i15function_traitsIS7_EEENT1_11result_typeERKT_PrKPcPKT0_PKN3c1010ScalarTypeEi.has_recursion, 0
	.set .L_ZN2at6native6invokeIZZZNS0_12_GLOBAL__N_121bessel_y1_kernel_cudaERNS_18TensorIteratorBaseEENKUlvE_clEvENKUlvE0_clEvEUlfE_i15function_traitsIS7_EEENT1_11result_typeERKT_PrKPcPKT0_PKN3c1010ScalarTypeEi.has_indirect_call, 0
	.section	.AMDGPU.csdata,"",@progbits
; Function info:
; codeLenInByte = 5320
; TotalNumSgprs: 34
; NumVgprs: 29
; ScratchSize: 0
; MemoryBound: 1
	.section	.text._ZN2at6native32elementwise_kernel_manual_unrollILi128ELi4EZNS0_15gpu_kernel_implIZZZNS0_12_GLOBAL__N_121bessel_y1_kernel_cudaERNS_18TensorIteratorBaseEENKUlvE_clEvENKUlvE0_clEvEUlfE_EEvS5_RKT_EUlibE_EEviT1_,"axG",@progbits,_ZN2at6native32elementwise_kernel_manual_unrollILi128ELi4EZNS0_15gpu_kernel_implIZZZNS0_12_GLOBAL__N_121bessel_y1_kernel_cudaERNS_18TensorIteratorBaseEENKUlvE_clEvENKUlvE0_clEvEUlfE_EEvS5_RKT_EUlibE_EEviT1_,comdat
	.globl	_ZN2at6native32elementwise_kernel_manual_unrollILi128ELi4EZNS0_15gpu_kernel_implIZZZNS0_12_GLOBAL__N_121bessel_y1_kernel_cudaERNS_18TensorIteratorBaseEENKUlvE_clEvENKUlvE0_clEvEUlfE_EEvS5_RKT_EUlibE_EEviT1_ ; -- Begin function _ZN2at6native32elementwise_kernel_manual_unrollILi128ELi4EZNS0_15gpu_kernel_implIZZZNS0_12_GLOBAL__N_121bessel_y1_kernel_cudaERNS_18TensorIteratorBaseEENKUlvE_clEvENKUlvE0_clEvEUlfE_EEvS5_RKT_EUlibE_EEviT1_
	.p2align	8
	.type	_ZN2at6native32elementwise_kernel_manual_unrollILi128ELi4EZNS0_15gpu_kernel_implIZZZNS0_12_GLOBAL__N_121bessel_y1_kernel_cudaERNS_18TensorIteratorBaseEENKUlvE_clEvENKUlvE0_clEvEUlfE_EEvS5_RKT_EUlibE_EEviT1_,@function
_ZN2at6native32elementwise_kernel_manual_unrollILi128ELi4EZNS0_15gpu_kernel_implIZZZNS0_12_GLOBAL__N_121bessel_y1_kernel_cudaERNS_18TensorIteratorBaseEENKUlvE_clEvENKUlvE0_clEvEUlfE_EEvS5_RKT_EUlibE_EEviT1_: ; @_ZN2at6native32elementwise_kernel_manual_unrollILi128ELi4EZNS0_15gpu_kernel_implIZZZNS0_12_GLOBAL__N_121bessel_y1_kernel_cudaERNS_18TensorIteratorBaseEENKUlvE_clEvENKUlvE0_clEvEUlfE_EEvS5_RKT_EUlibE_EEviT1_
; %bb.0:
	v_mov_b32_e32 v1, 0
	s_clause 0x2
	s_load_dword s26, s[4:5], 0x0
	s_load_dwordx2 s[20:21], s[4:5], 0x18
	s_load_dwordx4 s[16:19], s[4:5], 0x8
	v_lshl_or_b32 v32, s6, 9, v0
	v_mov_b32_e32 v0, 8
	s_add_u32 s0, s0, s7
	global_load_ushort v1, v1, s[4:5] offset:33
	s_addc_u32 s1, s1, 0
	v_or_b32_e32 v34, 0x180, v32
	s_mov_b32 s23, 0
	s_mov_b32 s25, 0
	;; [unrolled: 1-line block ×3, first 2 shown]
	s_mov_b32 s4, exec_lo
	s_waitcnt vmcnt(0)
	v_readfirstlane_b32 s22, v1
	v_lshrrev_b32_sdwa v33, v0, v1 dst_sel:DWORD dst_unused:UNUSED_PAD src0_sel:DWORD src1_sel:WORD_0
	s_waitcnt lgkmcnt(0)
	v_cmpx_le_i32_e64 s26, v34
	s_xor_b32 s24, exec_lo, s4
	s_cbranch_execz .LBB21_512
; %bb.1:
	s_mov_b32 s4, -1
	s_mov_b32 s28, 0
	s_mov_b32 s27, exec_lo
	v_cmpx_gt_i32_e64 s26, v32
	s_cbranch_execz .LBB21_124
; %bb.2:
	v_mov_b32_e32 v0, s18
	v_mov_b32_e32 v1, s19
	;; [unrolled: 1-line block ×5, first 2 shown]
	s_getpc_b64 s[4:5]
	s_add_u32 s4, s4, _ZN2at6native6invokeIZZZNS0_12_GLOBAL__N_121bessel_y1_kernel_cudaERNS_18TensorIteratorBaseEENKUlvE_clEvENKUlvE0_clEvEUlfE_i15function_traitsIS7_EEENT1_11result_typeERKT_PrKPcPKT0_PKN3c1010ScalarTypeEi@rel32@lo+4
	s_addc_u32 s5, s5, _ZN2at6native6invokeIZZZNS0_12_GLOBAL__N_121bessel_y1_kernel_cudaERNS_18TensorIteratorBaseEENKUlvE_clEvENKUlvE0_clEvEUlfE_i15function_traitsIS7_EEENT1_11result_typeERKT_PrKPcPKT0_PKN3c1010ScalarTypeEi@rel32@hi+12
	s_swappc_b64 s[30:31], s[4:5]
	v_mul_lo_u32 v1, v32, s20
	s_and_b32 s5, s22, 0xff
	s_cmp_lt_i32 s5, 11
	v_ashrrev_i32_e32 v3, 31, v1
	v_add_co_u32 v2, vcc_lo, s16, v1
	v_add_co_ci_u32_e64 v3, null, s17, v3, vcc_lo
	s_cbranch_scc1 .LBB21_9
; %bb.3:
	s_and_b32 s6, 0xffff, s5
	s_cmp_gt_i32 s6, 25
	s_cbranch_scc0 .LBB21_12
; %bb.4:
	s_cmp_gt_i32 s6, 28
	s_cbranch_scc0 .LBB21_13
; %bb.5:
	;; [unrolled: 3-line block ×4, first 2 shown]
	s_mov_b32 s8, 0
	s_mov_b32 s4, -1
	s_cmp_eq_u32 s6, 46
	s_mov_b32 s7, 0
	s_cbranch_scc0 .LBB21_16
; %bb.8:
	v_bfe_u32 v1, v0, 16, 1
	v_cmp_o_f32_e32 vcc_lo, v0, v0
	v_mov_b32_e32 v4, 0x7fc0
	s_mov_b32 s7, -1
	s_mov_b32 s4, 0
	v_add3_u32 v1, v0, v1, 0x7fff
	v_cndmask_b32_sdwa v1, v4, v1, vcc_lo dst_sel:DWORD dst_unused:UNUSED_PAD src0_sel:DWORD src1_sel:WORD_1
	global_store_dword v[2:3], v1, off
	s_branch .LBB21_16
.LBB21_9:
	s_mov_b32 s4, 0
	s_mov_b32 s7, 0
	s_cbranch_execnz .LBB21_84
.LBB21_10:
	s_andn2_b32 vcc_lo, exec_lo, s7
	s_cbranch_vccnz .LBB21_122
.LBB21_11:
	v_add_nc_u32_e32 v32, 0x80, v32
	s_mov_b32 s5, -1
	s_branch .LBB21_123
.LBB21_12:
	s_mov_b32 s4, 0
	s_mov_b32 s7, 0
	s_cbranch_execnz .LBB21_43
	s_branch .LBB21_83
.LBB21_13:
	s_mov_b32 s8, -1
	s_mov_b32 s4, 0
	s_mov_b32 s7, 0
	s_branch .LBB21_26
.LBB21_14:
	s_mov_b32 s8, -1
	s_mov_b32 s4, 0
	s_mov_b32 s7, 0
	s_branch .LBB21_22
.LBB21_15:
	s_mov_b32 s8, -1
	s_mov_b32 s4, 0
	s_mov_b32 s7, 0
.LBB21_16:
	s_and_b32 vcc_lo, exec_lo, s8
	s_cbranch_vccz .LBB21_21
; %bb.17:
	s_cmp_eq_u32 s6, 44
	s_mov_b32 s4, -1
	s_cbranch_scc0 .LBB21_21
; %bb.18:
	v_bfe_u32 v4, v0, 23, 8
	v_mov_b32_e32 v1, 0xff
	s_mov_b32 s7, exec_lo
	v_cmpx_ne_u32_e32 0xff, v4
	s_cbranch_execz .LBB21_20
; %bb.19:
	v_and_b32_e32 v1, 0x400000, v0
	v_and_or_b32 v4, 0x3fffff, v0, v4
	v_cmp_ne_u32_e32 vcc_lo, 0, v1
	v_cmp_ne_u32_e64 s4, 0, v4
	v_lshrrev_b32_e32 v1, 23, v0
	s_and_b32 s4, vcc_lo, s4
	v_cndmask_b32_e64 v4, 0, 1, s4
	v_add_nc_u32_e32 v1, v1, v4
.LBB21_20:
	s_or_b32 exec_lo, exec_lo, s7
	s_mov_b32 s7, -1
	s_mov_b32 s4, 0
	global_store_byte v[2:3], v1, off
.LBB21_21:
	s_mov_b32 s8, 0
.LBB21_22:
	s_and_b32 vcc_lo, exec_lo, s8
	s_cbranch_vccz .LBB21_25
; %bb.23:
	s_cmp_eq_u32 s6, 29
	s_mov_b32 s4, -1
	s_cbranch_scc0 .LBB21_25
; %bb.24:
	v_trunc_f32_e32 v1, v0
	s_mov_b32 s7, -1
	s_mov_b32 s4, 0
	s_mov_b32 s8, 0
	v_mul_f32_e32 v4, 0x2f800000, v1
	v_floor_f32_e32 v4, v4
	v_fmamk_f32 v1, v4, 0xcf800000, v1
	v_cvt_u32_f32_e32 v5, v4
	v_cvt_u32_f32_e32 v4, v1
	global_store_dwordx2 v[2:3], v[4:5], off
	s_branch .LBB21_26
.LBB21_25:
	s_mov_b32 s8, 0
.LBB21_26:
	s_and_b32 vcc_lo, exec_lo, s8
	s_cbranch_vccz .LBB21_42
; %bb.27:
	s_cmp_lt_i32 s6, 27
	s_mov_b32 s7, -1
	s_cbranch_scc1 .LBB21_33
; %bb.28:
	v_cvt_u32_f32_e32 v1, v0
	s_cmp_gt_i32 s6, 27
	s_cbranch_scc0 .LBB21_30
; %bb.29:
	s_mov_b32 s7, 0
	global_store_dword v[2:3], v1, off
.LBB21_30:
	s_andn2_b32 vcc_lo, exec_lo, s7
	s_cbranch_vccnz .LBB21_32
; %bb.31:
	global_store_short v[2:3], v1, off
.LBB21_32:
	s_mov_b32 s7, 0
.LBB21_33:
	s_andn2_b32 vcc_lo, exec_lo, s7
	s_cbranch_vccnz .LBB21_41
; %bb.34:
	v_and_b32_e32 v1, 0x7fffffff, v0
	v_mov_b32_e32 v4, 0x80
	s_mov_b32 s7, exec_lo
	v_cmpx_gt_u32_e32 0x43800000, v1
	s_cbranch_execz .LBB21_40
; %bb.35:
	v_cmp_lt_u32_e32 vcc_lo, 0x3bffffff, v1
	s_mov_b32 s8, 0
                                        ; implicit-def: $vgpr1
	s_and_saveexec_b32 s9, vcc_lo
	s_xor_b32 s9, exec_lo, s9
	s_cbranch_execz .LBB21_141
; %bb.36:
	v_bfe_u32 v1, v0, 20, 1
	s_mov_b32 s8, exec_lo
	v_add3_u32 v1, v0, v1, 0x487ffff
	v_lshrrev_b32_e32 v1, 20, v1
	s_andn2_saveexec_b32 s9, s9
	s_cbranch_execnz .LBB21_142
.LBB21_37:
	s_or_b32 exec_lo, exec_lo, s9
	v_mov_b32_e32 v4, 0
	s_and_saveexec_b32 s9, s8
.LBB21_38:
	v_lshrrev_b32_e32 v4, 24, v0
	v_and_or_b32 v4, 0x80, v4, v1
.LBB21_39:
	s_or_b32 exec_lo, exec_lo, s9
.LBB21_40:
	s_or_b32 exec_lo, exec_lo, s7
	global_store_byte v[2:3], v4, off
.LBB21_41:
	s_mov_b32 s7, -1
.LBB21_42:
	s_branch .LBB21_83
.LBB21_43:
	s_cmp_gt_i32 s6, 22
	s_mov_b32 s8, -1
	s_cbranch_scc0 .LBB21_75
; %bb.44:
	s_cmp_lt_i32 s6, 24
	s_mov_b32 s7, -1
	s_cbranch_scc1 .LBB21_64
; %bb.45:
	s_cmp_gt_i32 s6, 24
	s_cbranch_scc0 .LBB21_53
; %bb.46:
	v_and_b32_e32 v1, 0x7fffffff, v0
	v_mov_b32_e32 v4, 0x80
	s_mov_b32 s7, exec_lo
	v_cmpx_gt_u32_e32 0x47800000, v1
	s_cbranch_execz .LBB21_52
; %bb.47:
	v_cmp_lt_u32_e32 vcc_lo, 0x37ffffff, v1
	s_mov_b32 s8, 0
                                        ; implicit-def: $vgpr1
	s_and_saveexec_b32 s9, vcc_lo
	s_xor_b32 s9, exec_lo, s9
	s_cbranch_execz .LBB21_144
; %bb.48:
	v_bfe_u32 v1, v0, 21, 1
	s_mov_b32 s8, exec_lo
	v_add3_u32 v1, v0, v1, 0x88fffff
	v_lshrrev_b32_e32 v1, 21, v1
	s_andn2_saveexec_b32 s9, s9
	s_cbranch_execnz .LBB21_145
.LBB21_49:
	s_or_b32 exec_lo, exec_lo, s9
	v_mov_b32_e32 v4, 0
	s_and_saveexec_b32 s9, s8
.LBB21_50:
	v_lshrrev_b32_e32 v4, 24, v0
	v_and_or_b32 v4, 0x80, v4, v1
.LBB21_51:
	s_or_b32 exec_lo, exec_lo, s9
.LBB21_52:
	s_or_b32 exec_lo, exec_lo, s7
	s_mov_b32 s7, 0
	global_store_byte v[2:3], v4, off
.LBB21_53:
	s_and_b32 vcc_lo, exec_lo, s7
	s_cbranch_vccz .LBB21_63
; %bb.54:
	v_and_b32_e32 v4, 0x7fffffff, v0
	s_mov_b32 s7, exec_lo
                                        ; implicit-def: $vgpr1
	v_cmpx_gt_u32_e32 0x43f00000, v4
	s_xor_b32 s7, exec_lo, s7
	s_cbranch_execz .LBB21_60
; %bb.55:
	s_mov_b32 s8, exec_lo
                                        ; implicit-def: $vgpr1
	v_cmpx_lt_u32_e32 0x3c7fffff, v4
	s_xor_b32 s8, exec_lo, s8
; %bb.56:
	v_bfe_u32 v1, v0, 20, 1
	v_add3_u32 v1, v0, v1, 0x407ffff
	v_and_b32_e32 v4, 0xff00000, v1
	v_lshrrev_b32_e32 v1, 20, v1
	v_cmp_ne_u32_e32 vcc_lo, 0x7f00000, v4
	v_cndmask_b32_e32 v1, 0x7e, v1, vcc_lo
; %bb.57:
	s_andn2_saveexec_b32 s8, s8
; %bb.58:
	v_add_f32_e64 v1, 0x46800000, |v0|
; %bb.59:
	s_or_b32 exec_lo, exec_lo, s8
                                        ; implicit-def: $vgpr4
.LBB21_60:
	s_andn2_saveexec_b32 s7, s7
; %bb.61:
	v_mov_b32_e32 v1, 0x7f
	v_cmp_lt_u32_e32 vcc_lo, 0x7f800000, v4
	v_cndmask_b32_e32 v1, 0x7e, v1, vcc_lo
; %bb.62:
	s_or_b32 exec_lo, exec_lo, s7
	v_lshrrev_b32_e32 v4, 24, v0
	v_and_or_b32 v1, 0x80, v4, v1
	global_store_byte v[2:3], v1, off
.LBB21_63:
	s_mov_b32 s7, 0
.LBB21_64:
	s_andn2_b32 vcc_lo, exec_lo, s7
	s_cbranch_vccnz .LBB21_74
; %bb.65:
	v_and_b32_e32 v4, 0x7fffffff, v0
	s_mov_b32 s7, exec_lo
                                        ; implicit-def: $vgpr1
	v_cmpx_gt_u32_e32 0x47800000, v4
	s_xor_b32 s7, exec_lo, s7
	s_cbranch_execz .LBB21_71
; %bb.66:
	s_mov_b32 s8, exec_lo
                                        ; implicit-def: $vgpr1
	v_cmpx_lt_u32_e32 0x387fffff, v4
	s_xor_b32 s8, exec_lo, s8
; %bb.67:
	v_bfe_u32 v1, v0, 21, 1
	v_add3_u32 v1, v0, v1, 0x80fffff
	v_lshrrev_b32_e32 v1, 21, v1
; %bb.68:
	s_andn2_saveexec_b32 s8, s8
; %bb.69:
	v_add_f32_e64 v1, 0x43000000, |v0|
; %bb.70:
	s_or_b32 exec_lo, exec_lo, s8
                                        ; implicit-def: $vgpr4
.LBB21_71:
	s_andn2_saveexec_b32 s7, s7
; %bb.72:
	v_mov_b32_e32 v1, 0x7f
	v_cmp_lt_u32_e32 vcc_lo, 0x7f800000, v4
	v_cndmask_b32_e32 v1, 0x7c, v1, vcc_lo
; %bb.73:
	s_or_b32 exec_lo, exec_lo, s7
	v_lshrrev_b32_e32 v4, 24, v0
	v_and_or_b32 v1, 0x80, v4, v1
	global_store_byte v[2:3], v1, off
.LBB21_74:
	s_mov_b32 s8, 0
	s_mov_b32 s7, -1
.LBB21_75:
	s_andn2_b32 vcc_lo, exec_lo, s8
	s_cbranch_vccnz .LBB21_83
; %bb.76:
	s_cmp_gt_i32 s6, 14
	s_mov_b32 s8, -1
	s_cbranch_scc0 .LBB21_80
; %bb.77:
	s_cmp_eq_u32 s6, 15
	s_mov_b32 s4, -1
	s_cbranch_scc0 .LBB21_79
; %bb.78:
	v_bfe_u32 v1, v0, 16, 1
	v_cmp_o_f32_e32 vcc_lo, v0, v0
	v_mov_b32_e32 v4, 0x7fc0
	s_mov_b32 s7, -1
	s_mov_b32 s4, 0
	v_add3_u32 v1, v0, v1, 0x7fff
	v_cndmask_b32_sdwa v1, v4, v1, vcc_lo dst_sel:DWORD dst_unused:UNUSED_PAD src0_sel:DWORD src1_sel:WORD_1
	global_store_short v[2:3], v1, off
.LBB21_79:
	s_mov_b32 s8, 0
.LBB21_80:
	s_and_b32 vcc_lo, exec_lo, s8
	s_cbranch_vccz .LBB21_83
; %bb.81:
	s_cmp_eq_u32 s6, 11
	s_mov_b32 s4, -1
	s_cbranch_scc0 .LBB21_83
; %bb.82:
	v_cmp_neq_f32_e32 vcc_lo, 0, v0
	s_mov_b32 s4, 0
	s_mov_b32 s7, -1
	v_cndmask_b32_e64 v1, 0, 1, vcc_lo
	global_store_byte v[2:3], v1, off
.LBB21_83:
	s_branch .LBB21_10
.LBB21_84:
	s_and_b32 s5, 0xffff, s5
	s_mov_b32 s6, -1
	s_cmp_lt_i32 s5, 5
	s_cbranch_scc1 .LBB21_105
; %bb.85:
	s_cmp_lt_i32 s5, 8
	s_cbranch_scc1 .LBB21_95
; %bb.86:
	;; [unrolled: 3-line block ×3, first 2 shown]
	s_cmp_gt_i32 s5, 9
	s_cbranch_scc0 .LBB21_89
; %bb.88:
	v_cvt_f64_f32_e32 v[4:5], v0
	v_mov_b32_e32 v6, 0
	s_mov_b32 s6, 0
	v_mov_b32_e32 v7, v6
	global_store_dwordx4 v[2:3], v[4:7], off
.LBB21_89:
	s_andn2_b32 vcc_lo, exec_lo, s6
	s_cbranch_vccnz .LBB21_91
; %bb.90:
	v_mov_b32_e32 v1, 0
	global_store_dwordx2 v[2:3], v[0:1], off
.LBB21_91:
	s_mov_b32 s6, 0
.LBB21_92:
	s_andn2_b32 vcc_lo, exec_lo, s6
	s_cbranch_vccnz .LBB21_94
; %bb.93:
	v_cvt_f16_f32_e32 v1, v0
	v_and_b32_e32 v1, 0xffff, v1
	global_store_dword v[2:3], v1, off
.LBB21_94:
	s_mov_b32 s6, 0
.LBB21_95:
	s_andn2_b32 vcc_lo, exec_lo, s6
	s_cbranch_vccnz .LBB21_104
; %bb.96:
	s_cmp_lt_i32 s5, 6
	s_mov_b32 s6, -1
	s_cbranch_scc1 .LBB21_102
; %bb.97:
	s_cmp_gt_i32 s5, 6
	s_cbranch_scc0 .LBB21_99
; %bb.98:
	v_cvt_f64_f32_e32 v[4:5], v0
	s_mov_b32 s6, 0
	global_store_dwordx2 v[2:3], v[4:5], off
.LBB21_99:
	s_andn2_b32 vcc_lo, exec_lo, s6
	s_cbranch_vccnz .LBB21_101
; %bb.100:
	global_store_dword v[2:3], v0, off
.LBB21_101:
	s_mov_b32 s6, 0
.LBB21_102:
	s_andn2_b32 vcc_lo, exec_lo, s6
	s_cbranch_vccnz .LBB21_104
; %bb.103:
	v_cvt_f16_f32_e32 v1, v0
	global_store_short v[2:3], v1, off
.LBB21_104:
	s_mov_b32 s6, 0
.LBB21_105:
	s_andn2_b32 vcc_lo, exec_lo, s6
	s_cbranch_vccnz .LBB21_121
; %bb.106:
	s_cmp_lt_i32 s5, 2
	s_mov_b32 s6, -1
	s_cbranch_scc1 .LBB21_116
; %bb.107:
	s_cmp_lt_i32 s5, 3
	s_cbranch_scc1 .LBB21_113
; %bb.108:
	s_cmp_gt_i32 s5, 3
	s_cbranch_scc0 .LBB21_110
; %bb.109:
	v_trunc_f32_e32 v1, v0
	s_mov_b32 s6, 0
	v_mul_f32_e64 v4, 0x2f800000, |v1|
	v_floor_f32_e32 v4, v4
	v_fma_f32 v5, 0xcf800000, v4, |v1|
	v_ashrrev_i32_e32 v1, 31, v1
	v_cvt_u32_f32_e32 v4, v4
	v_cvt_u32_f32_e32 v5, v5
	v_xor_b32_e32 v6, v4, v1
	v_xor_b32_e32 v5, v5, v1
	v_sub_co_u32 v4, vcc_lo, v5, v1
	v_sub_co_ci_u32_e64 v5, null, v6, v1, vcc_lo
	global_store_dwordx2 v[2:3], v[4:5], off
.LBB21_110:
	s_andn2_b32 vcc_lo, exec_lo, s6
	s_cbranch_vccnz .LBB21_112
; %bb.111:
	v_cvt_i32_f32_e32 v1, v0
	global_store_dword v[2:3], v1, off
.LBB21_112:
	s_mov_b32 s6, 0
.LBB21_113:
	s_andn2_b32 vcc_lo, exec_lo, s6
	s_cbranch_vccnz .LBB21_115
; %bb.114:
	v_cvt_i32_f32_e32 v1, v0
	global_store_short v[2:3], v1, off
.LBB21_115:
	s_mov_b32 s6, 0
.LBB21_116:
	s_andn2_b32 vcc_lo, exec_lo, s6
	s_cbranch_vccnz .LBB21_121
; %bb.117:
	s_cmp_gt_i32 s5, 0
	s_mov_b32 s5, -1
	s_cbranch_scc0 .LBB21_119
; %bb.118:
	v_cvt_i32_f32_e32 v1, v0
	s_mov_b32 s5, 0
	global_store_byte v[2:3], v1, off
.LBB21_119:
	s_andn2_b32 vcc_lo, exec_lo, s5
	s_cbranch_vccnz .LBB21_121
; %bb.120:
	v_trunc_f32_e32 v0, v0
	v_mul_f32_e64 v1, 0x2f800000, |v0|
	v_floor_f32_e32 v1, v1
	v_fma_f32 v1, 0xcf800000, v1, |v0|
	v_ashrrev_i32_e32 v0, 31, v0
	v_cvt_u32_f32_e32 v1, v1
	v_xor_b32_e32 v1, v1, v0
	v_sub_nc_u32_e32 v0, v1, v0
	global_store_byte v[2:3], v0, off
.LBB21_121:
	s_branch .LBB21_11
.LBB21_122:
	s_mov_b32 s5, 0
                                        ; implicit-def: $vgpr32
.LBB21_123:
	s_and_b32 s25, s4, exec_lo
	s_orn2_b32 s4, s5, exec_lo
.LBB21_124:
	s_or_b32 exec_lo, exec_lo, s27
	s_mov_b32 s6, 0
                                        ; implicit-def: $sgpr5
                                        ; implicit-def: $vgpr2_vgpr3
                                        ; implicit-def: $vgpr0
	s_and_saveexec_b32 s27, s4
	s_cbranch_execz .LBB21_133
; %bb.125:
	s_mov_b32 s7, -1
	s_mov_b32 s28, s25
	s_mov_b32 s29, exec_lo
	v_cmpx_gt_i32_e64 s26, v32
	s_cbranch_execz .LBB21_256
; %bb.126:
	v_mov_b32_e32 v0, s18
	v_mov_b32_e32 v1, s19
	;; [unrolled: 1-line block ×5, first 2 shown]
	s_getpc_b64 s[4:5]
	s_add_u32 s4, s4, _ZN2at6native6invokeIZZZNS0_12_GLOBAL__N_121bessel_y1_kernel_cudaERNS_18TensorIteratorBaseEENKUlvE_clEvENKUlvE0_clEvEUlfE_i15function_traitsIS7_EEENT1_11result_typeERKT_PrKPcPKT0_PKN3c1010ScalarTypeEi@rel32@lo+4
	s_addc_u32 s5, s5, _ZN2at6native6invokeIZZZNS0_12_GLOBAL__N_121bessel_y1_kernel_cudaERNS_18TensorIteratorBaseEENKUlvE_clEvENKUlvE0_clEvEUlfE_i15function_traitsIS7_EEENT1_11result_typeERKT_PrKPcPKT0_PKN3c1010ScalarTypeEi@rel32@hi+12
	s_swappc_b64 s[30:31], s[4:5]
	v_mul_lo_u32 v1, v32, s20
	s_and_b32 s5, s22, 0xff
	s_cmp_lt_i32 s5, 11
	v_ashrrev_i32_e32 v3, 31, v1
	v_add_co_u32 v2, vcc_lo, s16, v1
	v_add_co_ci_u32_e64 v3, null, s17, v3, vcc_lo
	s_cbranch_scc1 .LBB21_136
; %bb.127:
	s_and_b32 s6, 0xffff, s5
	s_cmp_gt_i32 s6, 25
	s_cbranch_scc0 .LBB21_139
; %bb.128:
	s_cmp_gt_i32 s6, 28
	s_cbranch_scc0 .LBB21_140
; %bb.129:
	;; [unrolled: 3-line block ×4, first 2 shown]
	s_mov_b32 s8, 0
	s_mov_b32 s4, -1
	s_cmp_eq_u32 s6, 46
	s_mov_b32 s7, 0
	s_cbranch_scc0 .LBB21_147
; %bb.132:
	v_bfe_u32 v1, v0, 16, 1
	v_cmp_o_f32_e32 vcc_lo, v0, v0
	v_mov_b32_e32 v4, 0x7fc0
	s_mov_b32 s7, -1
	s_mov_b32 s4, 0
	v_add3_u32 v1, v0, v1, 0x7fff
	v_cndmask_b32_sdwa v1, v4, v1, vcc_lo dst_sel:DWORD dst_unused:UNUSED_PAD src0_sel:DWORD src1_sel:WORD_1
	global_store_dword v[2:3], v1, off
	s_branch .LBB21_147
.LBB21_133:
	s_or_b32 exec_lo, exec_lo, s27
	s_mov_b32 s4, 0
	s_and_saveexec_b32 s7, s25
	s_cbranch_execnz .LBB21_472
.LBB21_134:
	s_or_b32 exec_lo, exec_lo, s7
	s_and_saveexec_b32 s7, s28
	s_xor_b32 s7, exec_lo, s7
	s_cbranch_execz .LBB21_473
.LBB21_135:
	v_cmp_neq_f32_e32 vcc_lo, 0, v0
	v_cndmask_b32_e64 v1, 0, 1, vcc_lo
	global_store_byte v[2:3], v1, off
	s_or_b32 exec_lo, exec_lo, s7
	s_and_saveexec_b32 s7, s6
	s_xor_b32 s6, exec_lo, s7
	s_cbranch_execz .LBB21_511
	s_branch .LBB21_474
.LBB21_136:
	s_mov_b32 s7, 0
	s_mov_b32 s4, s25
	s_cbranch_execnz .LBB21_216
.LBB21_137:
	s_andn2_b32 vcc_lo, exec_lo, s7
	s_cbranch_vccnz .LBB21_254
.LBB21_138:
	v_add_nc_u32_e32 v32, 0x80, v32
	s_mov_b32 s5, -1
	s_branch .LBB21_255
.LBB21_139:
	s_mov_b32 s8, -1
	s_mov_b32 s7, 0
	s_mov_b32 s4, s25
	s_branch .LBB21_174
.LBB21_140:
	s_mov_b32 s8, -1
	s_mov_b32 s7, 0
	s_mov_b32 s4, s25
	s_branch .LBB21_157
.LBB21_141:
	s_andn2_saveexec_b32 s9, s9
	s_cbranch_execz .LBB21_37
.LBB21_142:
	v_add_f32_e64 v1, 0x46000000, |v0|
	s_andn2_b32 s8, s8, exec_lo
	v_and_b32_e32 v1, 0xff, v1
	v_cmp_ne_u32_e32 vcc_lo, 0, v1
	s_and_b32 s10, vcc_lo, exec_lo
	s_or_b32 s8, s8, s10
	s_or_b32 exec_lo, exec_lo, s9
	v_mov_b32_e32 v4, 0
	s_and_saveexec_b32 s9, s8
	s_cbranch_execnz .LBB21_38
	s_branch .LBB21_39
.LBB21_143:
	s_mov_b32 s8, -1
	s_mov_b32 s7, 0
	s_mov_b32 s4, s25
	s_branch .LBB21_153
.LBB21_144:
	s_andn2_saveexec_b32 s9, s9
	s_cbranch_execz .LBB21_49
.LBB21_145:
	v_add_f32_e64 v1, 0x42800000, |v0|
	s_andn2_b32 s8, s8, exec_lo
	v_and_b32_e32 v1, 0xff, v1
	v_cmp_ne_u32_e32 vcc_lo, 0, v1
	s_and_b32 s10, vcc_lo, exec_lo
	s_or_b32 s8, s8, s10
	s_or_b32 exec_lo, exec_lo, s9
	v_mov_b32_e32 v4, 0
	s_and_saveexec_b32 s9, s8
	s_cbranch_execnz .LBB21_50
	s_branch .LBB21_51
.LBB21_146:
	s_mov_b32 s8, -1
	s_mov_b32 s7, 0
	s_mov_b32 s4, s25
.LBB21_147:
	s_and_b32 vcc_lo, exec_lo, s8
	s_cbranch_vccz .LBB21_152
; %bb.148:
	s_cmp_eq_u32 s6, 44
	s_mov_b32 s4, -1
	s_cbranch_scc0 .LBB21_152
; %bb.149:
	v_bfe_u32 v4, v0, 23, 8
	v_mov_b32_e32 v1, 0xff
	s_mov_b32 s7, exec_lo
	v_cmpx_ne_u32_e32 0xff, v4
	s_cbranch_execz .LBB21_151
; %bb.150:
	v_and_b32_e32 v1, 0x400000, v0
	v_and_or_b32 v4, 0x3fffff, v0, v4
	v_cmp_ne_u32_e32 vcc_lo, 0, v1
	v_cmp_ne_u32_e64 s4, 0, v4
	v_lshrrev_b32_e32 v1, 23, v0
	s_and_b32 s4, vcc_lo, s4
	v_cndmask_b32_e64 v4, 0, 1, s4
	v_add_nc_u32_e32 v1, v1, v4
.LBB21_151:
	s_or_b32 exec_lo, exec_lo, s7
	s_mov_b32 s7, -1
	s_mov_b32 s4, 0
	global_store_byte v[2:3], v1, off
.LBB21_152:
	s_mov_b32 s8, 0
.LBB21_153:
	s_and_b32 vcc_lo, exec_lo, s8
	s_cbranch_vccz .LBB21_156
; %bb.154:
	s_cmp_eq_u32 s6, 29
	s_mov_b32 s4, -1
	s_cbranch_scc0 .LBB21_156
; %bb.155:
	v_trunc_f32_e32 v1, v0
	s_mov_b32 s7, -1
	s_mov_b32 s4, 0
	s_mov_b32 s8, 0
	v_mul_f32_e32 v4, 0x2f800000, v1
	v_floor_f32_e32 v4, v4
	v_fmamk_f32 v1, v4, 0xcf800000, v1
	v_cvt_u32_f32_e32 v5, v4
	v_cvt_u32_f32_e32 v4, v1
	global_store_dwordx2 v[2:3], v[4:5], off
	s_branch .LBB21_157
.LBB21_156:
	s_mov_b32 s8, 0
.LBB21_157:
	s_and_b32 vcc_lo, exec_lo, s8
	s_cbranch_vccz .LBB21_173
; %bb.158:
	s_cmp_lt_i32 s6, 27
	s_mov_b32 s7, -1
	s_cbranch_scc1 .LBB21_164
; %bb.159:
	v_cvt_u32_f32_e32 v1, v0
	s_cmp_gt_i32 s6, 27
	s_cbranch_scc0 .LBB21_161
; %bb.160:
	s_mov_b32 s7, 0
	global_store_dword v[2:3], v1, off
.LBB21_161:
	s_andn2_b32 vcc_lo, exec_lo, s7
	s_cbranch_vccnz .LBB21_163
; %bb.162:
	global_store_short v[2:3], v1, off
.LBB21_163:
	s_mov_b32 s7, 0
.LBB21_164:
	s_andn2_b32 vcc_lo, exec_lo, s7
	s_cbranch_vccnz .LBB21_172
; %bb.165:
	v_and_b32_e32 v1, 0x7fffffff, v0
	v_mov_b32_e32 v4, 0x80
	s_mov_b32 s7, exec_lo
	v_cmpx_gt_u32_e32 0x43800000, v1
	s_cbranch_execz .LBB21_171
; %bb.166:
	v_cmp_lt_u32_e32 vcc_lo, 0x3bffffff, v1
	s_mov_b32 s8, 0
                                        ; implicit-def: $vgpr1
	s_and_saveexec_b32 s9, vcc_lo
	s_xor_b32 s9, exec_lo, s9
	s_cbranch_execz .LBB21_268
; %bb.167:
	v_bfe_u32 v1, v0, 20, 1
	s_mov_b32 s8, exec_lo
	v_add3_u32 v1, v0, v1, 0x487ffff
	v_lshrrev_b32_e32 v1, 20, v1
	s_andn2_saveexec_b32 s9, s9
	s_cbranch_execnz .LBB21_269
.LBB21_168:
	s_or_b32 exec_lo, exec_lo, s9
	v_mov_b32_e32 v4, 0
	s_and_saveexec_b32 s9, s8
.LBB21_169:
	v_lshrrev_b32_e32 v4, 24, v0
	v_and_or_b32 v4, 0x80, v4, v1
.LBB21_170:
	s_or_b32 exec_lo, exec_lo, s9
.LBB21_171:
	s_or_b32 exec_lo, exec_lo, s7
	global_store_byte v[2:3], v4, off
.LBB21_172:
	s_mov_b32 s7, -1
.LBB21_173:
	s_mov_b32 s8, 0
.LBB21_174:
	s_and_b32 vcc_lo, exec_lo, s8
	s_cbranch_vccz .LBB21_215
; %bb.175:
	s_cmp_gt_i32 s6, 22
	s_mov_b32 s8, -1
	s_cbranch_scc0 .LBB21_207
; %bb.176:
	s_cmp_lt_i32 s6, 24
	s_mov_b32 s7, -1
	s_cbranch_scc1 .LBB21_196
; %bb.177:
	s_cmp_gt_i32 s6, 24
	s_cbranch_scc0 .LBB21_185
; %bb.178:
	v_and_b32_e32 v1, 0x7fffffff, v0
	v_mov_b32_e32 v4, 0x80
	s_mov_b32 s7, exec_lo
	v_cmpx_gt_u32_e32 0x47800000, v1
	s_cbranch_execz .LBB21_184
; %bb.179:
	v_cmp_lt_u32_e32 vcc_lo, 0x37ffffff, v1
	s_mov_b32 s8, 0
                                        ; implicit-def: $vgpr1
	s_and_saveexec_b32 s9, vcc_lo
	s_xor_b32 s9, exec_lo, s9
	s_cbranch_execz .LBB21_271
; %bb.180:
	v_bfe_u32 v1, v0, 21, 1
	s_mov_b32 s8, exec_lo
	v_add3_u32 v1, v0, v1, 0x88fffff
	v_lshrrev_b32_e32 v1, 21, v1
	s_andn2_saveexec_b32 s9, s9
	s_cbranch_execnz .LBB21_272
.LBB21_181:
	s_or_b32 exec_lo, exec_lo, s9
	v_mov_b32_e32 v4, 0
	s_and_saveexec_b32 s9, s8
.LBB21_182:
	v_lshrrev_b32_e32 v4, 24, v0
	v_and_or_b32 v4, 0x80, v4, v1
.LBB21_183:
	s_or_b32 exec_lo, exec_lo, s9
.LBB21_184:
	s_or_b32 exec_lo, exec_lo, s7
	s_mov_b32 s7, 0
	global_store_byte v[2:3], v4, off
.LBB21_185:
	s_and_b32 vcc_lo, exec_lo, s7
	s_cbranch_vccz .LBB21_195
; %bb.186:
	v_and_b32_e32 v4, 0x7fffffff, v0
	s_mov_b32 s7, exec_lo
                                        ; implicit-def: $vgpr1
	v_cmpx_gt_u32_e32 0x43f00000, v4
	s_xor_b32 s7, exec_lo, s7
	s_cbranch_execz .LBB21_192
; %bb.187:
	s_mov_b32 s8, exec_lo
                                        ; implicit-def: $vgpr1
	v_cmpx_lt_u32_e32 0x3c7fffff, v4
	s_xor_b32 s8, exec_lo, s8
; %bb.188:
	v_bfe_u32 v1, v0, 20, 1
	v_add3_u32 v1, v0, v1, 0x407ffff
	v_and_b32_e32 v4, 0xff00000, v1
	v_lshrrev_b32_e32 v1, 20, v1
	v_cmp_ne_u32_e32 vcc_lo, 0x7f00000, v4
	v_cndmask_b32_e32 v1, 0x7e, v1, vcc_lo
; %bb.189:
	s_andn2_saveexec_b32 s8, s8
; %bb.190:
	v_add_f32_e64 v1, 0x46800000, |v0|
; %bb.191:
	s_or_b32 exec_lo, exec_lo, s8
                                        ; implicit-def: $vgpr4
.LBB21_192:
	s_andn2_saveexec_b32 s7, s7
; %bb.193:
	v_mov_b32_e32 v1, 0x7f
	v_cmp_lt_u32_e32 vcc_lo, 0x7f800000, v4
	v_cndmask_b32_e32 v1, 0x7e, v1, vcc_lo
; %bb.194:
	s_or_b32 exec_lo, exec_lo, s7
	v_lshrrev_b32_e32 v4, 24, v0
	v_and_or_b32 v1, 0x80, v4, v1
	global_store_byte v[2:3], v1, off
.LBB21_195:
	s_mov_b32 s7, 0
.LBB21_196:
	s_andn2_b32 vcc_lo, exec_lo, s7
	s_cbranch_vccnz .LBB21_206
; %bb.197:
	v_and_b32_e32 v4, 0x7fffffff, v0
	s_mov_b32 s7, exec_lo
                                        ; implicit-def: $vgpr1
	v_cmpx_gt_u32_e32 0x47800000, v4
	s_xor_b32 s7, exec_lo, s7
	s_cbranch_execz .LBB21_203
; %bb.198:
	s_mov_b32 s8, exec_lo
                                        ; implicit-def: $vgpr1
	v_cmpx_lt_u32_e32 0x387fffff, v4
	s_xor_b32 s8, exec_lo, s8
; %bb.199:
	v_bfe_u32 v1, v0, 21, 1
	v_add3_u32 v1, v0, v1, 0x80fffff
	v_lshrrev_b32_e32 v1, 21, v1
; %bb.200:
	s_andn2_saveexec_b32 s8, s8
; %bb.201:
	v_add_f32_e64 v1, 0x43000000, |v0|
; %bb.202:
	s_or_b32 exec_lo, exec_lo, s8
                                        ; implicit-def: $vgpr4
.LBB21_203:
	s_andn2_saveexec_b32 s7, s7
; %bb.204:
	v_mov_b32_e32 v1, 0x7f
	v_cmp_lt_u32_e32 vcc_lo, 0x7f800000, v4
	v_cndmask_b32_e32 v1, 0x7c, v1, vcc_lo
; %bb.205:
	s_or_b32 exec_lo, exec_lo, s7
	v_lshrrev_b32_e32 v4, 24, v0
	v_and_or_b32 v1, 0x80, v4, v1
	global_store_byte v[2:3], v1, off
.LBB21_206:
	s_mov_b32 s8, 0
	s_mov_b32 s7, -1
.LBB21_207:
	s_andn2_b32 vcc_lo, exec_lo, s8
	s_cbranch_vccnz .LBB21_215
; %bb.208:
	s_cmp_gt_i32 s6, 14
	s_mov_b32 s8, -1
	s_cbranch_scc0 .LBB21_212
; %bb.209:
	s_cmp_eq_u32 s6, 15
	s_mov_b32 s4, -1
	s_cbranch_scc0 .LBB21_211
; %bb.210:
	v_bfe_u32 v1, v0, 16, 1
	v_cmp_o_f32_e32 vcc_lo, v0, v0
	v_mov_b32_e32 v4, 0x7fc0
	s_mov_b32 s7, -1
	s_mov_b32 s4, 0
	v_add3_u32 v1, v0, v1, 0x7fff
	v_cndmask_b32_sdwa v1, v4, v1, vcc_lo dst_sel:DWORD dst_unused:UNUSED_PAD src0_sel:DWORD src1_sel:WORD_1
	global_store_short v[2:3], v1, off
.LBB21_211:
	s_mov_b32 s8, 0
.LBB21_212:
	s_and_b32 vcc_lo, exec_lo, s8
	s_cbranch_vccz .LBB21_215
; %bb.213:
	s_cmp_eq_u32 s6, 11
	s_mov_b32 s4, -1
	s_cbranch_scc0 .LBB21_215
; %bb.214:
	v_cmp_neq_f32_e32 vcc_lo, 0, v0
	s_mov_b32 s4, 0
	s_mov_b32 s7, -1
	v_cndmask_b32_e64 v1, 0, 1, vcc_lo
	global_store_byte v[2:3], v1, off
.LBB21_215:
	s_branch .LBB21_137
.LBB21_216:
	s_and_b32 s5, 0xffff, s5
	s_mov_b32 s6, -1
	s_cmp_lt_i32 s5, 5
	s_cbranch_scc1 .LBB21_237
; %bb.217:
	s_cmp_lt_i32 s5, 8
	s_cbranch_scc1 .LBB21_227
; %bb.218:
	;; [unrolled: 3-line block ×3, first 2 shown]
	s_cmp_gt_i32 s5, 9
	s_cbranch_scc0 .LBB21_221
; %bb.220:
	v_cvt_f64_f32_e32 v[4:5], v0
	v_mov_b32_e32 v6, 0
	s_mov_b32 s6, 0
	v_mov_b32_e32 v7, v6
	global_store_dwordx4 v[2:3], v[4:7], off
.LBB21_221:
	s_andn2_b32 vcc_lo, exec_lo, s6
	s_cbranch_vccnz .LBB21_223
; %bb.222:
	v_mov_b32_e32 v1, 0
	global_store_dwordx2 v[2:3], v[0:1], off
.LBB21_223:
	s_mov_b32 s6, 0
.LBB21_224:
	s_andn2_b32 vcc_lo, exec_lo, s6
	s_cbranch_vccnz .LBB21_226
; %bb.225:
	v_cvt_f16_f32_e32 v1, v0
	v_and_b32_e32 v1, 0xffff, v1
	global_store_dword v[2:3], v1, off
.LBB21_226:
	s_mov_b32 s6, 0
.LBB21_227:
	s_andn2_b32 vcc_lo, exec_lo, s6
	s_cbranch_vccnz .LBB21_236
; %bb.228:
	s_cmp_lt_i32 s5, 6
	s_mov_b32 s6, -1
	s_cbranch_scc1 .LBB21_234
; %bb.229:
	s_cmp_gt_i32 s5, 6
	s_cbranch_scc0 .LBB21_231
; %bb.230:
	v_cvt_f64_f32_e32 v[4:5], v0
	s_mov_b32 s6, 0
	global_store_dwordx2 v[2:3], v[4:5], off
.LBB21_231:
	s_andn2_b32 vcc_lo, exec_lo, s6
	s_cbranch_vccnz .LBB21_233
; %bb.232:
	global_store_dword v[2:3], v0, off
.LBB21_233:
	s_mov_b32 s6, 0
.LBB21_234:
	s_andn2_b32 vcc_lo, exec_lo, s6
	s_cbranch_vccnz .LBB21_236
; %bb.235:
	v_cvt_f16_f32_e32 v1, v0
	global_store_short v[2:3], v1, off
.LBB21_236:
	s_mov_b32 s6, 0
.LBB21_237:
	s_andn2_b32 vcc_lo, exec_lo, s6
	s_cbranch_vccnz .LBB21_253
; %bb.238:
	s_cmp_lt_i32 s5, 2
	s_mov_b32 s6, -1
	s_cbranch_scc1 .LBB21_248
; %bb.239:
	s_cmp_lt_i32 s5, 3
	s_cbranch_scc1 .LBB21_245
; %bb.240:
	s_cmp_gt_i32 s5, 3
	s_cbranch_scc0 .LBB21_242
; %bb.241:
	v_trunc_f32_e32 v1, v0
	s_mov_b32 s6, 0
	v_mul_f32_e64 v4, 0x2f800000, |v1|
	v_floor_f32_e32 v4, v4
	v_fma_f32 v5, 0xcf800000, v4, |v1|
	v_ashrrev_i32_e32 v1, 31, v1
	v_cvt_u32_f32_e32 v4, v4
	v_cvt_u32_f32_e32 v5, v5
	v_xor_b32_e32 v6, v4, v1
	v_xor_b32_e32 v5, v5, v1
	v_sub_co_u32 v4, vcc_lo, v5, v1
	v_sub_co_ci_u32_e64 v5, null, v6, v1, vcc_lo
	global_store_dwordx2 v[2:3], v[4:5], off
.LBB21_242:
	s_andn2_b32 vcc_lo, exec_lo, s6
	s_cbranch_vccnz .LBB21_244
; %bb.243:
	v_cvt_i32_f32_e32 v1, v0
	global_store_dword v[2:3], v1, off
.LBB21_244:
	s_mov_b32 s6, 0
.LBB21_245:
	s_andn2_b32 vcc_lo, exec_lo, s6
	s_cbranch_vccnz .LBB21_247
; %bb.246:
	v_cvt_i32_f32_e32 v1, v0
	global_store_short v[2:3], v1, off
.LBB21_247:
	s_mov_b32 s6, 0
.LBB21_248:
	s_andn2_b32 vcc_lo, exec_lo, s6
	s_cbranch_vccnz .LBB21_253
; %bb.249:
	s_cmp_gt_i32 s5, 0
	s_mov_b32 s5, -1
	s_cbranch_scc0 .LBB21_251
; %bb.250:
	v_cvt_i32_f32_e32 v1, v0
	s_mov_b32 s5, 0
	global_store_byte v[2:3], v1, off
.LBB21_251:
	s_andn2_b32 vcc_lo, exec_lo, s5
	s_cbranch_vccnz .LBB21_253
; %bb.252:
	v_trunc_f32_e32 v0, v0
	v_mul_f32_e64 v1, 0x2f800000, |v0|
	v_floor_f32_e32 v1, v1
	v_fma_f32 v1, 0xcf800000, v1, |v0|
	v_ashrrev_i32_e32 v0, 31, v0
	v_cvt_u32_f32_e32 v1, v1
	v_xor_b32_e32 v1, v1, v0
	v_sub_nc_u32_e32 v0, v1, v0
	global_store_byte v[2:3], v0, off
.LBB21_253:
	s_branch .LBB21_138
.LBB21_254:
	s_mov_b32 s5, 0
                                        ; implicit-def: $vgpr32
.LBB21_255:
	s_andn2_b32 s6, s25, exec_lo
	s_and_b32 s4, s4, exec_lo
	s_orn2_b32 s7, s5, exec_lo
	s_or_b32 s28, s6, s4
.LBB21_256:
	s_or_b32 exec_lo, exec_lo, s29
	s_mov_b32 s4, 0
	s_mov_b32 s6, 0
                                        ; implicit-def: $sgpr5
                                        ; implicit-def: $vgpr2_vgpr3
                                        ; implicit-def: $vgpr0
	s_and_saveexec_b32 s29, s7
	s_cbranch_execz .LBB21_471
; %bb.257:
	s_mov_b32 s7, -1
	s_mov_b32 s34, s28
	s_mov_b32 s33, exec_lo
	v_cmpx_gt_i32_e64 s26, v32
	s_cbranch_execz .LBB21_386
; %bb.258:
	v_mov_b32_e32 v0, s18
	v_mov_b32_e32 v1, s19
	;; [unrolled: 1-line block ×5, first 2 shown]
	s_getpc_b64 s[4:5]
	s_add_u32 s4, s4, _ZN2at6native6invokeIZZZNS0_12_GLOBAL__N_121bessel_y1_kernel_cudaERNS_18TensorIteratorBaseEENKUlvE_clEvENKUlvE0_clEvEUlfE_i15function_traitsIS7_EEENT1_11result_typeERKT_PrKPcPKT0_PKN3c1010ScalarTypeEi@rel32@lo+4
	s_addc_u32 s5, s5, _ZN2at6native6invokeIZZZNS0_12_GLOBAL__N_121bessel_y1_kernel_cudaERNS_18TensorIteratorBaseEENKUlvE_clEvENKUlvE0_clEvEUlfE_i15function_traitsIS7_EEENT1_11result_typeERKT_PrKPcPKT0_PKN3c1010ScalarTypeEi@rel32@hi+12
	s_swappc_b64 s[30:31], s[4:5]
	v_mul_lo_u32 v1, v32, s20
	s_and_b32 s5, s22, 0xff
	s_cmp_lt_i32 s5, 11
	v_ashrrev_i32_e32 v3, 31, v1
	v_add_co_u32 v2, vcc_lo, s16, v1
	v_add_co_ci_u32_e64 v3, null, s17, v3, vcc_lo
	s_cbranch_scc1 .LBB21_265
; %bb.259:
	s_and_b32 s6, 0xffff, s5
	s_cmp_gt_i32 s6, 25
	s_cbranch_scc0 .LBB21_266
; %bb.260:
	s_cmp_gt_i32 s6, 28
	s_cbranch_scc0 .LBB21_267
; %bb.261:
	s_cmp_gt_i32 s6, 43
	s_cbranch_scc0 .LBB21_270
; %bb.262:
	s_cmp_gt_i32 s6, 45
	s_cbranch_scc0 .LBB21_273
; %bb.263:
	s_mov_b32 s8, 0
	s_mov_b32 s4, -1
	s_cmp_eq_u32 s6, 46
	s_mov_b32 s7, 0
	s_cbranch_scc0 .LBB21_274
; %bb.264:
	v_bfe_u32 v1, v0, 16, 1
	v_cmp_o_f32_e32 vcc_lo, v0, v0
	v_mov_b32_e32 v4, 0x7fc0
	s_mov_b32 s7, -1
	s_mov_b32 s4, 0
	v_add3_u32 v1, v0, v1, 0x7fff
	v_cndmask_b32_sdwa v1, v4, v1, vcc_lo dst_sel:DWORD dst_unused:UNUSED_PAD src0_sel:DWORD src1_sel:WORD_1
	global_store_dword v[2:3], v1, off
	s_branch .LBB21_274
.LBB21_265:
	s_mov_b32 s6, -1
	s_mov_b32 s7, 0
	s_mov_b32 s4, s28
	s_branch .LBB21_343
.LBB21_266:
	s_mov_b32 s8, -1
	s_mov_b32 s7, 0
	s_mov_b32 s4, s28
	s_branch .LBB21_301
.LBB21_267:
	s_mov_b32 s8, -1
	s_mov_b32 s7, 0
	s_mov_b32 s4, s28
	s_branch .LBB21_284
.LBB21_268:
	s_andn2_saveexec_b32 s9, s9
	s_cbranch_execz .LBB21_168
.LBB21_269:
	v_add_f32_e64 v1, 0x46000000, |v0|
	s_andn2_b32 s8, s8, exec_lo
	v_and_b32_e32 v1, 0xff, v1
	v_cmp_ne_u32_e32 vcc_lo, 0, v1
	s_and_b32 s10, vcc_lo, exec_lo
	s_or_b32 s8, s8, s10
	s_or_b32 exec_lo, exec_lo, s9
	v_mov_b32_e32 v4, 0
	s_and_saveexec_b32 s9, s8
	s_cbranch_execnz .LBB21_169
	s_branch .LBB21_170
.LBB21_270:
	s_mov_b32 s8, -1
	s_mov_b32 s7, 0
	s_mov_b32 s4, s28
	s_branch .LBB21_280
.LBB21_271:
	s_andn2_saveexec_b32 s9, s9
	s_cbranch_execz .LBB21_181
.LBB21_272:
	v_add_f32_e64 v1, 0x42800000, |v0|
	s_andn2_b32 s8, s8, exec_lo
	v_and_b32_e32 v1, 0xff, v1
	v_cmp_ne_u32_e32 vcc_lo, 0, v1
	s_and_b32 s10, vcc_lo, exec_lo
	s_or_b32 s8, s8, s10
	s_or_b32 exec_lo, exec_lo, s9
	v_mov_b32_e32 v4, 0
	s_and_saveexec_b32 s9, s8
	s_cbranch_execnz .LBB21_182
	s_branch .LBB21_183
.LBB21_273:
	s_mov_b32 s8, -1
	s_mov_b32 s7, 0
	s_mov_b32 s4, s28
.LBB21_274:
	s_and_b32 vcc_lo, exec_lo, s8
	s_cbranch_vccz .LBB21_279
; %bb.275:
	s_cmp_eq_u32 s6, 44
	s_mov_b32 s4, -1
	s_cbranch_scc0 .LBB21_279
; %bb.276:
	v_bfe_u32 v4, v0, 23, 8
	v_mov_b32_e32 v1, 0xff
	s_mov_b32 s7, exec_lo
	v_cmpx_ne_u32_e32 0xff, v4
	s_cbranch_execz .LBB21_278
; %bb.277:
	v_and_b32_e32 v1, 0x400000, v0
	v_and_or_b32 v4, 0x3fffff, v0, v4
	v_cmp_ne_u32_e32 vcc_lo, 0, v1
	v_cmp_ne_u32_e64 s4, 0, v4
	v_lshrrev_b32_e32 v1, 23, v0
	s_and_b32 s4, vcc_lo, s4
	v_cndmask_b32_e64 v4, 0, 1, s4
	v_add_nc_u32_e32 v1, v1, v4
.LBB21_278:
	s_or_b32 exec_lo, exec_lo, s7
	s_mov_b32 s7, -1
	s_mov_b32 s4, 0
	global_store_byte v[2:3], v1, off
.LBB21_279:
	s_mov_b32 s8, 0
.LBB21_280:
	s_and_b32 vcc_lo, exec_lo, s8
	s_cbranch_vccz .LBB21_283
; %bb.281:
	s_cmp_eq_u32 s6, 29
	s_mov_b32 s4, -1
	s_cbranch_scc0 .LBB21_283
; %bb.282:
	v_trunc_f32_e32 v1, v0
	s_mov_b32 s7, -1
	s_mov_b32 s4, 0
	s_mov_b32 s8, 0
	v_mul_f32_e32 v4, 0x2f800000, v1
	v_floor_f32_e32 v4, v4
	v_fmamk_f32 v1, v4, 0xcf800000, v1
	v_cvt_u32_f32_e32 v5, v4
	v_cvt_u32_f32_e32 v4, v1
	global_store_dwordx2 v[2:3], v[4:5], off
	s_branch .LBB21_284
.LBB21_283:
	s_mov_b32 s8, 0
.LBB21_284:
	s_and_b32 vcc_lo, exec_lo, s8
	s_cbranch_vccz .LBB21_300
; %bb.285:
	s_cmp_lt_i32 s6, 27
	s_mov_b32 s7, -1
	s_cbranch_scc1 .LBB21_291
; %bb.286:
	v_cvt_u32_f32_e32 v1, v0
	s_cmp_gt_i32 s6, 27
	s_cbranch_scc0 .LBB21_288
; %bb.287:
	s_mov_b32 s7, 0
	global_store_dword v[2:3], v1, off
.LBB21_288:
	s_andn2_b32 vcc_lo, exec_lo, s7
	s_cbranch_vccnz .LBB21_290
; %bb.289:
	global_store_short v[2:3], v1, off
.LBB21_290:
	s_mov_b32 s7, 0
.LBB21_291:
	s_andn2_b32 vcc_lo, exec_lo, s7
	s_cbranch_vccnz .LBB21_299
; %bb.292:
	v_and_b32_e32 v1, 0x7fffffff, v0
	v_mov_b32_e32 v4, 0x80
	s_mov_b32 s7, exec_lo
	v_cmpx_gt_u32_e32 0x43800000, v1
	s_cbranch_execz .LBB21_298
; %bb.293:
	v_cmp_lt_u32_e32 vcc_lo, 0x3bffffff, v1
	s_mov_b32 s8, 0
                                        ; implicit-def: $vgpr1
	s_and_saveexec_b32 s9, vcc_lo
	s_xor_b32 s9, exec_lo, s9
	s_cbranch_execz .LBB21_396
; %bb.294:
	v_bfe_u32 v1, v0, 20, 1
	s_mov_b32 s8, exec_lo
	v_add3_u32 v1, v0, v1, 0x487ffff
	v_lshrrev_b32_e32 v1, 20, v1
	s_andn2_saveexec_b32 s9, s9
	s_cbranch_execnz .LBB21_397
.LBB21_295:
	s_or_b32 exec_lo, exec_lo, s9
	v_mov_b32_e32 v4, 0
	s_and_saveexec_b32 s9, s8
.LBB21_296:
	v_lshrrev_b32_e32 v4, 24, v0
	v_and_or_b32 v4, 0x80, v4, v1
.LBB21_297:
	s_or_b32 exec_lo, exec_lo, s9
.LBB21_298:
	s_or_b32 exec_lo, exec_lo, s7
	global_store_byte v[2:3], v4, off
.LBB21_299:
	s_mov_b32 s7, -1
.LBB21_300:
	s_mov_b32 s8, 0
.LBB21_301:
	s_and_b32 vcc_lo, exec_lo, s8
	s_cbranch_vccz .LBB21_342
; %bb.302:
	s_cmp_gt_i32 s6, 22
	s_mov_b32 s8, -1
	s_cbranch_scc0 .LBB21_334
; %bb.303:
	s_cmp_lt_i32 s6, 24
	s_mov_b32 s7, -1
	s_cbranch_scc1 .LBB21_323
; %bb.304:
	s_cmp_gt_i32 s6, 24
	s_cbranch_scc0 .LBB21_312
; %bb.305:
	v_and_b32_e32 v1, 0x7fffffff, v0
	v_mov_b32_e32 v4, 0x80
	s_mov_b32 s7, exec_lo
	v_cmpx_gt_u32_e32 0x47800000, v1
	s_cbranch_execz .LBB21_311
; %bb.306:
	v_cmp_lt_u32_e32 vcc_lo, 0x37ffffff, v1
	s_mov_b32 s8, 0
                                        ; implicit-def: $vgpr1
	s_and_saveexec_b32 s9, vcc_lo
	s_xor_b32 s9, exec_lo, s9
	s_cbranch_execz .LBB21_398
; %bb.307:
	v_bfe_u32 v1, v0, 21, 1
	s_mov_b32 s8, exec_lo
	v_add3_u32 v1, v0, v1, 0x88fffff
	v_lshrrev_b32_e32 v1, 21, v1
	s_andn2_saveexec_b32 s9, s9
	s_cbranch_execnz .LBB21_399
.LBB21_308:
	s_or_b32 exec_lo, exec_lo, s9
	v_mov_b32_e32 v4, 0
	s_and_saveexec_b32 s9, s8
.LBB21_309:
	v_lshrrev_b32_e32 v4, 24, v0
	v_and_or_b32 v4, 0x80, v4, v1
.LBB21_310:
	s_or_b32 exec_lo, exec_lo, s9
.LBB21_311:
	s_or_b32 exec_lo, exec_lo, s7
	s_mov_b32 s7, 0
	global_store_byte v[2:3], v4, off
.LBB21_312:
	s_and_b32 vcc_lo, exec_lo, s7
	s_cbranch_vccz .LBB21_322
; %bb.313:
	v_and_b32_e32 v4, 0x7fffffff, v0
	s_mov_b32 s7, exec_lo
                                        ; implicit-def: $vgpr1
	v_cmpx_gt_u32_e32 0x43f00000, v4
	s_xor_b32 s7, exec_lo, s7
	s_cbranch_execz .LBB21_319
; %bb.314:
	s_mov_b32 s8, exec_lo
                                        ; implicit-def: $vgpr1
	v_cmpx_lt_u32_e32 0x3c7fffff, v4
	s_xor_b32 s8, exec_lo, s8
; %bb.315:
	v_bfe_u32 v1, v0, 20, 1
	v_add3_u32 v1, v0, v1, 0x407ffff
	v_and_b32_e32 v4, 0xff00000, v1
	v_lshrrev_b32_e32 v1, 20, v1
	v_cmp_ne_u32_e32 vcc_lo, 0x7f00000, v4
	v_cndmask_b32_e32 v1, 0x7e, v1, vcc_lo
; %bb.316:
	s_andn2_saveexec_b32 s8, s8
; %bb.317:
	v_add_f32_e64 v1, 0x46800000, |v0|
; %bb.318:
	s_or_b32 exec_lo, exec_lo, s8
                                        ; implicit-def: $vgpr4
.LBB21_319:
	s_andn2_saveexec_b32 s7, s7
; %bb.320:
	v_mov_b32_e32 v1, 0x7f
	v_cmp_lt_u32_e32 vcc_lo, 0x7f800000, v4
	v_cndmask_b32_e32 v1, 0x7e, v1, vcc_lo
; %bb.321:
	s_or_b32 exec_lo, exec_lo, s7
	v_lshrrev_b32_e32 v4, 24, v0
	v_and_or_b32 v1, 0x80, v4, v1
	global_store_byte v[2:3], v1, off
.LBB21_322:
	s_mov_b32 s7, 0
.LBB21_323:
	s_andn2_b32 vcc_lo, exec_lo, s7
	s_cbranch_vccnz .LBB21_333
; %bb.324:
	v_and_b32_e32 v4, 0x7fffffff, v0
	s_mov_b32 s7, exec_lo
                                        ; implicit-def: $vgpr1
	v_cmpx_gt_u32_e32 0x47800000, v4
	s_xor_b32 s7, exec_lo, s7
	s_cbranch_execz .LBB21_330
; %bb.325:
	s_mov_b32 s8, exec_lo
                                        ; implicit-def: $vgpr1
	v_cmpx_lt_u32_e32 0x387fffff, v4
	s_xor_b32 s8, exec_lo, s8
; %bb.326:
	v_bfe_u32 v1, v0, 21, 1
	v_add3_u32 v1, v0, v1, 0x80fffff
	v_lshrrev_b32_e32 v1, 21, v1
; %bb.327:
	s_andn2_saveexec_b32 s8, s8
; %bb.328:
	v_add_f32_e64 v1, 0x43000000, |v0|
; %bb.329:
	s_or_b32 exec_lo, exec_lo, s8
                                        ; implicit-def: $vgpr4
.LBB21_330:
	s_andn2_saveexec_b32 s7, s7
; %bb.331:
	v_mov_b32_e32 v1, 0x7f
	v_cmp_lt_u32_e32 vcc_lo, 0x7f800000, v4
	v_cndmask_b32_e32 v1, 0x7c, v1, vcc_lo
; %bb.332:
	s_or_b32 exec_lo, exec_lo, s7
	v_lshrrev_b32_e32 v4, 24, v0
	v_and_or_b32 v1, 0x80, v4, v1
	global_store_byte v[2:3], v1, off
.LBB21_333:
	s_mov_b32 s8, 0
	s_mov_b32 s7, -1
.LBB21_334:
	s_andn2_b32 vcc_lo, exec_lo, s8
	s_cbranch_vccnz .LBB21_342
; %bb.335:
	s_cmp_gt_i32 s6, 14
	s_mov_b32 s8, -1
	s_cbranch_scc0 .LBB21_339
; %bb.336:
	s_cmp_eq_u32 s6, 15
	s_mov_b32 s4, -1
	s_cbranch_scc0 .LBB21_338
; %bb.337:
	v_bfe_u32 v1, v0, 16, 1
	v_cmp_o_f32_e32 vcc_lo, v0, v0
	v_mov_b32_e32 v4, 0x7fc0
	s_mov_b32 s7, -1
	s_mov_b32 s4, 0
	v_add3_u32 v1, v0, v1, 0x7fff
	v_cndmask_b32_sdwa v1, v4, v1, vcc_lo dst_sel:DWORD dst_unused:UNUSED_PAD src0_sel:DWORD src1_sel:WORD_1
	global_store_short v[2:3], v1, off
.LBB21_338:
	s_mov_b32 s8, 0
.LBB21_339:
	s_and_b32 vcc_lo, exec_lo, s8
	s_cbranch_vccz .LBB21_342
; %bb.340:
	s_cmp_eq_u32 s6, 11
	s_mov_b32 s4, -1
	s_cbranch_scc0 .LBB21_342
; %bb.341:
	v_cmp_neq_f32_e32 vcc_lo, 0, v0
	s_mov_b32 s4, 0
	s_mov_b32 s7, -1
	v_cndmask_b32_e64 v1, 0, 1, vcc_lo
	global_store_byte v[2:3], v1, off
.LBB21_342:
	s_mov_b32 s6, 0
.LBB21_343:
	s_and_b32 vcc_lo, exec_lo, s6
	s_cbranch_vccz .LBB21_382
; %bb.344:
	s_and_b32 s5, 0xffff, s5
	s_mov_b32 s6, -1
	s_cmp_lt_i32 s5, 5
	s_cbranch_scc1 .LBB21_365
; %bb.345:
	s_cmp_lt_i32 s5, 8
	s_cbranch_scc1 .LBB21_355
; %bb.346:
	;; [unrolled: 3-line block ×3, first 2 shown]
	s_cmp_gt_i32 s5, 9
	s_cbranch_scc0 .LBB21_349
; %bb.348:
	v_cvt_f64_f32_e32 v[4:5], v0
	v_mov_b32_e32 v6, 0
	s_mov_b32 s6, 0
	v_mov_b32_e32 v7, v6
	global_store_dwordx4 v[2:3], v[4:7], off
.LBB21_349:
	s_andn2_b32 vcc_lo, exec_lo, s6
	s_cbranch_vccnz .LBB21_351
; %bb.350:
	v_mov_b32_e32 v1, 0
	global_store_dwordx2 v[2:3], v[0:1], off
.LBB21_351:
	s_mov_b32 s6, 0
.LBB21_352:
	s_andn2_b32 vcc_lo, exec_lo, s6
	s_cbranch_vccnz .LBB21_354
; %bb.353:
	v_cvt_f16_f32_e32 v1, v0
	v_and_b32_e32 v1, 0xffff, v1
	global_store_dword v[2:3], v1, off
.LBB21_354:
	s_mov_b32 s6, 0
.LBB21_355:
	s_andn2_b32 vcc_lo, exec_lo, s6
	s_cbranch_vccnz .LBB21_364
; %bb.356:
	s_cmp_lt_i32 s5, 6
	s_mov_b32 s6, -1
	s_cbranch_scc1 .LBB21_362
; %bb.357:
	s_cmp_gt_i32 s5, 6
	s_cbranch_scc0 .LBB21_359
; %bb.358:
	v_cvt_f64_f32_e32 v[4:5], v0
	s_mov_b32 s6, 0
	global_store_dwordx2 v[2:3], v[4:5], off
.LBB21_359:
	s_andn2_b32 vcc_lo, exec_lo, s6
	s_cbranch_vccnz .LBB21_361
; %bb.360:
	global_store_dword v[2:3], v0, off
.LBB21_361:
	s_mov_b32 s6, 0
.LBB21_362:
	s_andn2_b32 vcc_lo, exec_lo, s6
	s_cbranch_vccnz .LBB21_364
; %bb.363:
	v_cvt_f16_f32_e32 v1, v0
	global_store_short v[2:3], v1, off
.LBB21_364:
	s_mov_b32 s6, 0
.LBB21_365:
	s_andn2_b32 vcc_lo, exec_lo, s6
	s_cbranch_vccnz .LBB21_381
; %bb.366:
	s_cmp_lt_i32 s5, 2
	s_mov_b32 s6, -1
	s_cbranch_scc1 .LBB21_376
; %bb.367:
	s_cmp_lt_i32 s5, 3
	s_cbranch_scc1 .LBB21_373
; %bb.368:
	s_cmp_gt_i32 s5, 3
	s_cbranch_scc0 .LBB21_370
; %bb.369:
	v_trunc_f32_e32 v1, v0
	s_mov_b32 s6, 0
	v_mul_f32_e64 v4, 0x2f800000, |v1|
	v_floor_f32_e32 v4, v4
	v_fma_f32 v5, 0xcf800000, v4, |v1|
	v_ashrrev_i32_e32 v1, 31, v1
	v_cvt_u32_f32_e32 v4, v4
	v_cvt_u32_f32_e32 v5, v5
	v_xor_b32_e32 v6, v4, v1
	v_xor_b32_e32 v5, v5, v1
	v_sub_co_u32 v4, vcc_lo, v5, v1
	v_sub_co_ci_u32_e64 v5, null, v6, v1, vcc_lo
	global_store_dwordx2 v[2:3], v[4:5], off
.LBB21_370:
	s_andn2_b32 vcc_lo, exec_lo, s6
	s_cbranch_vccnz .LBB21_372
; %bb.371:
	v_cvt_i32_f32_e32 v1, v0
	global_store_dword v[2:3], v1, off
.LBB21_372:
	s_mov_b32 s6, 0
.LBB21_373:
	s_andn2_b32 vcc_lo, exec_lo, s6
	s_cbranch_vccnz .LBB21_375
; %bb.374:
	v_cvt_i32_f32_e32 v1, v0
	global_store_short v[2:3], v1, off
.LBB21_375:
	s_mov_b32 s6, 0
.LBB21_376:
	s_andn2_b32 vcc_lo, exec_lo, s6
	s_cbranch_vccnz .LBB21_381
; %bb.377:
	s_cmp_gt_i32 s5, 0
	s_mov_b32 s5, -1
	s_cbranch_scc0 .LBB21_379
; %bb.378:
	v_cvt_i32_f32_e32 v1, v0
	s_mov_b32 s5, 0
	global_store_byte v[2:3], v1, off
.LBB21_379:
	s_andn2_b32 vcc_lo, exec_lo, s5
	s_cbranch_vccnz .LBB21_381
; %bb.380:
	v_trunc_f32_e32 v0, v0
	v_mul_f32_e64 v1, 0x2f800000, |v0|
	v_floor_f32_e32 v1, v1
	v_fma_f32 v1, 0xcf800000, v1, |v0|
	v_ashrrev_i32_e32 v0, 31, v0
	v_cvt_u32_f32_e32 v1, v1
	v_xor_b32_e32 v1, v1, v0
	v_sub_nc_u32_e32 v0, v1, v0
	global_store_byte v[2:3], v0, off
.LBB21_381:
	s_mov_b32 s7, -1
.LBB21_382:
	s_andn2_b32 vcc_lo, exec_lo, s7
	s_cbranch_vccnz .LBB21_384
; %bb.383:
	v_add_nc_u32_e32 v32, 0x80, v32
	s_mov_b32 s5, -1
	s_branch .LBB21_385
.LBB21_384:
	s_mov_b32 s5, 0
                                        ; implicit-def: $vgpr32
.LBB21_385:
	s_andn2_b32 s6, s28, exec_lo
	s_and_b32 s4, s4, exec_lo
	s_orn2_b32 s7, s5, exec_lo
	s_or_b32 s34, s6, s4
.LBB21_386:
	s_or_b32 exec_lo, exec_lo, s33
	s_mov_b32 s4, 0
	s_mov_b32 s6, 0
                                        ; implicit-def: $sgpr5
                                        ; implicit-def: $vgpr2_vgpr3
                                        ; implicit-def: $vgpr0
	s_and_saveexec_b32 s33, s7
	s_cbranch_execz .LBB21_470
; %bb.387:
	v_cmp_gt_i32_e32 vcc_lo, s26, v32
	s_mov_b32 s7, s34
                                        ; implicit-def: $sgpr5
                                        ; implicit-def: $vgpr2_vgpr3
                                        ; implicit-def: $vgpr0
	s_and_saveexec_b32 s26, vcc_lo
	s_cbranch_execz .LBB21_469
; %bb.388:
	v_mov_b32_e32 v0, s18
	v_mov_b32_e32 v1, s19
	v_mov_b32_e32 v2, s21
	v_mov_b32_e32 v3, v33
	v_mov_b32_e32 v4, v32
	s_getpc_b64 s[4:5]
	s_add_u32 s4, s4, _ZN2at6native6invokeIZZZNS0_12_GLOBAL__N_121bessel_y1_kernel_cudaERNS_18TensorIteratorBaseEENKUlvE_clEvENKUlvE0_clEvEUlfE_i15function_traitsIS7_EEENT1_11result_typeERKT_PrKPcPKT0_PKN3c1010ScalarTypeEi@rel32@lo+4
	s_addc_u32 s5, s5, _ZN2at6native6invokeIZZZNS0_12_GLOBAL__N_121bessel_y1_kernel_cudaERNS_18TensorIteratorBaseEENKUlvE_clEvENKUlvE0_clEvEUlfE_i15function_traitsIS7_EEENT1_11result_typeERKT_PrKPcPKT0_PKN3c1010ScalarTypeEi@rel32@hi+12
	s_swappc_b64 s[30:31], s[4:5]
	v_mul_lo_u32 v1, v32, s20
	s_and_b32 s5, s22, 0xff
	s_cmp_lt_i32 s5, 11
	v_ashrrev_i32_e32 v3, 31, v1
	v_add_co_u32 v2, vcc_lo, s16, v1
	v_add_co_ci_u32_e64 v3, null, s17, v3, vcc_lo
	s_cbranch_scc1 .LBB21_395
; %bb.389:
	s_and_b32 s6, 0xffff, s5
	s_mov_b32 s7, -1
	s_cmp_gt_i32 s6, 25
	s_mov_b32 s4, s34
	s_cbranch_scc0 .LBB21_427
; %bb.390:
	s_cmp_gt_i32 s6, 28
	s_mov_b32 s4, s34
	s_cbranch_scc0 .LBB21_411
; %bb.391:
	;; [unrolled: 4-line block ×4, first 2 shown]
	s_cmp_eq_u32 s6, 46
	s_mov_b32 s4, -1
	s_cbranch_scc0 .LBB21_400
; %bb.394:
	v_bfe_u32 v1, v0, 16, 1
	v_cmp_o_f32_e32 vcc_lo, v0, v0
	v_mov_b32_e32 v4, 0x7fc0
	s_mov_b32 s4, 0
	s_mov_b32 s7, 0
	v_add3_u32 v1, v0, v1, 0x7fff
	v_cndmask_b32_sdwa v1, v4, v1, vcc_lo dst_sel:DWORD dst_unused:UNUSED_PAD src0_sel:DWORD src1_sel:WORD_1
	global_store_dword v[2:3], v1, off
	s_branch .LBB21_401
.LBB21_395:
	s_mov_b32 s8, 0
	s_mov_b32 s7, -1
	s_mov_b32 s4, s34
	s_branch .LBB21_468
.LBB21_396:
	s_andn2_saveexec_b32 s9, s9
	s_cbranch_execz .LBB21_295
.LBB21_397:
	v_add_f32_e64 v1, 0x46000000, |v0|
	s_andn2_b32 s8, s8, exec_lo
	v_and_b32_e32 v1, 0xff, v1
	v_cmp_ne_u32_e32 vcc_lo, 0, v1
	s_and_b32 s10, vcc_lo, exec_lo
	s_or_b32 s8, s8, s10
	s_or_b32 exec_lo, exec_lo, s9
	v_mov_b32_e32 v4, 0
	s_and_saveexec_b32 s9, s8
	s_cbranch_execnz .LBB21_296
	s_branch .LBB21_297
.LBB21_398:
	s_andn2_saveexec_b32 s9, s9
	s_cbranch_execz .LBB21_308
.LBB21_399:
	v_add_f32_e64 v1, 0x42800000, |v0|
	s_andn2_b32 s8, s8, exec_lo
	v_and_b32_e32 v1, 0xff, v1
	v_cmp_ne_u32_e32 vcc_lo, 0, v1
	s_and_b32 s10, vcc_lo, exec_lo
	s_or_b32 s8, s8, s10
	s_or_b32 exec_lo, exec_lo, s9
	v_mov_b32_e32 v4, 0
	s_and_saveexec_b32 s9, s8
	s_cbranch_execnz .LBB21_309
	s_branch .LBB21_310
.LBB21_400:
	s_mov_b32 s7, 0
.LBB21_401:
	s_and_b32 vcc_lo, exec_lo, s7
	s_cbranch_vccz .LBB21_406
; %bb.402:
	s_cmp_eq_u32 s6, 44
	s_mov_b32 s4, -1
	s_cbranch_scc0 .LBB21_406
; %bb.403:
	v_bfe_u32 v4, v0, 23, 8
	v_mov_b32_e32 v1, 0xff
	s_mov_b32 s7, exec_lo
	v_cmpx_ne_u32_e32 0xff, v4
	s_cbranch_execz .LBB21_405
; %bb.404:
	v_and_b32_e32 v1, 0x400000, v0
	v_and_or_b32 v4, 0x3fffff, v0, v4
	v_cmp_ne_u32_e32 vcc_lo, 0, v1
	v_cmp_ne_u32_e64 s4, 0, v4
	v_lshrrev_b32_e32 v1, 23, v0
	s_and_b32 s4, vcc_lo, s4
	v_cndmask_b32_e64 v4, 0, 1, s4
	v_add_nc_u32_e32 v1, v1, v4
.LBB21_405:
	s_or_b32 exec_lo, exec_lo, s7
	s_mov_b32 s4, 0
	global_store_byte v[2:3], v1, off
.LBB21_406:
	s_mov_b32 s7, 0
.LBB21_407:
	s_and_b32 vcc_lo, exec_lo, s7
	s_cbranch_vccz .LBB21_410
; %bb.408:
	s_cmp_eq_u32 s6, 29
	s_mov_b32 s4, -1
	s_cbranch_scc0 .LBB21_410
; %bb.409:
	v_trunc_f32_e32 v1, v0
	s_mov_b32 s4, 0
	s_mov_b32 s7, 0
	v_mul_f32_e32 v4, 0x2f800000, v1
	v_floor_f32_e32 v4, v4
	v_fmamk_f32 v1, v4, 0xcf800000, v1
	v_cvt_u32_f32_e32 v5, v4
	v_cvt_u32_f32_e32 v4, v1
	global_store_dwordx2 v[2:3], v[4:5], off
	s_branch .LBB21_411
.LBB21_410:
	s_mov_b32 s7, 0
.LBB21_411:
	s_and_b32 vcc_lo, exec_lo, s7
	s_cbranch_vccz .LBB21_426
; %bb.412:
	s_cmp_lt_i32 s6, 27
	s_mov_b32 s7, -1
	s_cbranch_scc1 .LBB21_418
; %bb.413:
	v_cvt_u32_f32_e32 v1, v0
	s_cmp_gt_i32 s6, 27
	s_cbranch_scc0 .LBB21_415
; %bb.414:
	s_mov_b32 s7, 0
	global_store_dword v[2:3], v1, off
.LBB21_415:
	s_andn2_b32 vcc_lo, exec_lo, s7
	s_cbranch_vccnz .LBB21_417
; %bb.416:
	global_store_short v[2:3], v1, off
.LBB21_417:
	s_mov_b32 s7, 0
.LBB21_418:
	s_andn2_b32 vcc_lo, exec_lo, s7
	s_cbranch_vccnz .LBB21_426
; %bb.419:
	v_and_b32_e32 v1, 0x7fffffff, v0
	v_mov_b32_e32 v4, 0x80
	s_mov_b32 s7, exec_lo
	v_cmpx_gt_u32_e32 0x43800000, v1
	s_cbranch_execz .LBB21_425
; %bb.420:
	v_cmp_lt_u32_e32 vcc_lo, 0x3bffffff, v1
	s_mov_b32 s8, 0
                                        ; implicit-def: $vgpr1
	s_and_saveexec_b32 s9, vcc_lo
	s_xor_b32 s9, exec_lo, s9
	s_cbranch_execz .LBB21_1007
; %bb.421:
	v_bfe_u32 v1, v0, 20, 1
	s_mov_b32 s8, exec_lo
	v_add3_u32 v1, v0, v1, 0x487ffff
	v_lshrrev_b32_e32 v1, 20, v1
	s_andn2_saveexec_b32 s9, s9
	s_cbranch_execnz .LBB21_1008
.LBB21_422:
	s_or_b32 exec_lo, exec_lo, s9
	v_mov_b32_e32 v4, 0
	s_and_saveexec_b32 s9, s8
.LBB21_423:
	v_lshrrev_b32_e32 v4, 24, v0
	v_and_or_b32 v4, 0x80, v4, v1
.LBB21_424:
	s_or_b32 exec_lo, exec_lo, s9
.LBB21_425:
	s_or_b32 exec_lo, exec_lo, s7
	global_store_byte v[2:3], v4, off
.LBB21_426:
	s_mov_b32 s7, 0
.LBB21_427:
	s_and_b32 vcc_lo, exec_lo, s7
	s_mov_b32 s7, 0
	s_cbranch_vccz .LBB21_467
; %bb.428:
	s_cmp_gt_i32 s6, 22
	s_mov_b32 s8, -1
	s_cbranch_scc0 .LBB21_460
; %bb.429:
	s_cmp_lt_i32 s6, 24
	s_cbranch_scc1 .LBB21_449
; %bb.430:
	s_cmp_gt_i32 s6, 24
	s_cbranch_scc0 .LBB21_438
; %bb.431:
	v_and_b32_e32 v1, 0x7fffffff, v0
	v_mov_b32_e32 v4, 0x80
	s_mov_b32 s8, exec_lo
	v_cmpx_gt_u32_e32 0x47800000, v1
	s_cbranch_execz .LBB21_437
; %bb.432:
	v_cmp_lt_u32_e32 vcc_lo, 0x37ffffff, v1
	s_mov_b32 s9, 0
                                        ; implicit-def: $vgpr1
	s_and_saveexec_b32 s10, vcc_lo
	s_xor_b32 s10, exec_lo, s10
	s_cbranch_execz .LBB21_1011
; %bb.433:
	v_bfe_u32 v1, v0, 21, 1
	s_mov_b32 s9, exec_lo
	v_add3_u32 v1, v0, v1, 0x88fffff
	v_lshrrev_b32_e32 v1, 21, v1
	s_andn2_saveexec_b32 s10, s10
	s_cbranch_execnz .LBB21_1012
.LBB21_434:
	s_or_b32 exec_lo, exec_lo, s10
	v_mov_b32_e32 v4, 0
	s_and_saveexec_b32 s10, s9
.LBB21_435:
	v_lshrrev_b32_e32 v4, 24, v0
	v_and_or_b32 v4, 0x80, v4, v1
.LBB21_436:
	s_or_b32 exec_lo, exec_lo, s10
.LBB21_437:
	s_or_b32 exec_lo, exec_lo, s8
	s_mov_b32 s8, 0
	global_store_byte v[2:3], v4, off
.LBB21_438:
	s_and_b32 vcc_lo, exec_lo, s8
	s_cbranch_vccz .LBB21_448
; %bb.439:
	v_and_b32_e32 v4, 0x7fffffff, v0
	s_mov_b32 s8, exec_lo
                                        ; implicit-def: $vgpr1
	v_cmpx_gt_u32_e32 0x43f00000, v4
	s_xor_b32 s8, exec_lo, s8
	s_cbranch_execz .LBB21_445
; %bb.440:
	s_mov_b32 s9, exec_lo
                                        ; implicit-def: $vgpr1
	v_cmpx_lt_u32_e32 0x3c7fffff, v4
	s_xor_b32 s9, exec_lo, s9
; %bb.441:
	v_bfe_u32 v1, v0, 20, 1
	v_add3_u32 v1, v0, v1, 0x407ffff
	v_and_b32_e32 v4, 0xff00000, v1
	v_lshrrev_b32_e32 v1, 20, v1
	v_cmp_ne_u32_e32 vcc_lo, 0x7f00000, v4
	v_cndmask_b32_e32 v1, 0x7e, v1, vcc_lo
; %bb.442:
	s_andn2_saveexec_b32 s9, s9
; %bb.443:
	v_add_f32_e64 v1, 0x46800000, |v0|
; %bb.444:
	s_or_b32 exec_lo, exec_lo, s9
                                        ; implicit-def: $vgpr4
.LBB21_445:
	s_andn2_saveexec_b32 s8, s8
; %bb.446:
	v_mov_b32_e32 v1, 0x7f
	v_cmp_lt_u32_e32 vcc_lo, 0x7f800000, v4
	v_cndmask_b32_e32 v1, 0x7e, v1, vcc_lo
; %bb.447:
	s_or_b32 exec_lo, exec_lo, s8
	v_lshrrev_b32_e32 v4, 24, v0
	v_and_or_b32 v1, 0x80, v4, v1
	global_store_byte v[2:3], v1, off
.LBB21_448:
	s_mov_b32 s8, 0
.LBB21_449:
	s_andn2_b32 vcc_lo, exec_lo, s8
	s_cbranch_vccnz .LBB21_459
; %bb.450:
	v_and_b32_e32 v4, 0x7fffffff, v0
	s_mov_b32 s8, exec_lo
                                        ; implicit-def: $vgpr1
	v_cmpx_gt_u32_e32 0x47800000, v4
	s_xor_b32 s8, exec_lo, s8
	s_cbranch_execz .LBB21_456
; %bb.451:
	s_mov_b32 s9, exec_lo
                                        ; implicit-def: $vgpr1
	v_cmpx_lt_u32_e32 0x387fffff, v4
	s_xor_b32 s9, exec_lo, s9
; %bb.452:
	v_bfe_u32 v1, v0, 21, 1
	v_add3_u32 v1, v0, v1, 0x80fffff
	v_lshrrev_b32_e32 v1, 21, v1
; %bb.453:
	s_andn2_saveexec_b32 s9, s9
; %bb.454:
	v_add_f32_e64 v1, 0x43000000, |v0|
; %bb.455:
	s_or_b32 exec_lo, exec_lo, s9
                                        ; implicit-def: $vgpr4
.LBB21_456:
	s_andn2_saveexec_b32 s8, s8
; %bb.457:
	v_mov_b32_e32 v1, 0x7f
	v_cmp_lt_u32_e32 vcc_lo, 0x7f800000, v4
	v_cndmask_b32_e32 v1, 0x7c, v1, vcc_lo
; %bb.458:
	s_or_b32 exec_lo, exec_lo, s8
	v_lshrrev_b32_e32 v4, 24, v0
	v_and_or_b32 v1, 0x80, v4, v1
	global_store_byte v[2:3], v1, off
.LBB21_459:
	s_mov_b32 s8, 0
.LBB21_460:
	s_andn2_b32 vcc_lo, exec_lo, s8
	s_mov_b32 s8, 0
	s_cbranch_vccnz .LBB21_468
; %bb.461:
	s_cmp_gt_i32 s6, 14
	s_mov_b32 s8, -1
	s_cbranch_scc0 .LBB21_465
; %bb.462:
	s_cmp_eq_u32 s6, 15
	s_mov_b32 s4, -1
	s_cbranch_scc0 .LBB21_464
; %bb.463:
	v_bfe_u32 v1, v0, 16, 1
	v_cmp_o_f32_e32 vcc_lo, v0, v0
	v_mov_b32_e32 v4, 0x7fc0
	s_mov_b32 s4, 0
	v_add3_u32 v1, v0, v1, 0x7fff
	v_cndmask_b32_sdwa v1, v4, v1, vcc_lo dst_sel:DWORD dst_unused:UNUSED_PAD src0_sel:DWORD src1_sel:WORD_1
	global_store_short v[2:3], v1, off
.LBB21_464:
	s_mov_b32 s8, 0
.LBB21_465:
	s_and_b32 vcc_lo, exec_lo, s8
	s_mov_b32 s8, 0
	s_cbranch_vccz .LBB21_468
; %bb.466:
	s_cmp_lg_u32 s6, 11
	s_mov_b32 s8, -1
	s_cselect_b32 s6, -1, 0
	s_andn2_b32 s4, s4, exec_lo
	s_and_b32 s6, s6, exec_lo
	s_or_b32 s4, s4, s6
	s_branch .LBB21_468
.LBB21_467:
	s_mov_b32 s8, 0
.LBB21_468:
	s_and_b32 s6, s7, exec_lo
	s_andn2_b32 s7, s34, exec_lo
	s_and_b32 s9, s4, exec_lo
	s_and_b32 s4, s8, exec_lo
	s_or_b32 s7, s7, s9
.LBB21_469:
	s_or_b32 exec_lo, exec_lo, s26
	s_andn2_b32 s8, s34, exec_lo
	s_and_b32 s7, s7, exec_lo
	s_and_b32 s6, s6, exec_lo
	;; [unrolled: 1-line block ×3, first 2 shown]
	s_or_b32 s34, s8, s7
.LBB21_470:
	s_or_b32 exec_lo, exec_lo, s33
	s_andn2_b32 s7, s28, exec_lo
	s_and_b32 s8, s34, exec_lo
	s_and_b32 s6, s6, exec_lo
	;; [unrolled: 1-line block ×3, first 2 shown]
	s_or_b32 s28, s7, s8
.LBB21_471:
	s_or_b32 exec_lo, exec_lo, s29
	s_andn2_b32 s7, s25, exec_lo
	s_and_b32 s8, s28, exec_lo
	s_and_b32 s6, s6, exec_lo
	;; [unrolled: 1-line block ×3, first 2 shown]
	s_or_b32 s25, s7, s8
	s_or_b32 exec_lo, exec_lo, s27
	s_mov_b32 s4, 0
	s_and_saveexec_b32 s7, s25
	s_cbranch_execz .LBB21_134
.LBB21_472:
	s_mov_b32 s4, exec_lo
	s_andn2_b32 s28, s28, exec_lo
	s_trap 2
	s_or_b32 exec_lo, exec_lo, s7
	s_and_saveexec_b32 s7, s28
	s_xor_b32 s7, exec_lo, s7
	s_cbranch_execnz .LBB21_135
.LBB21_473:
	s_or_b32 exec_lo, exec_lo, s7
	s_and_saveexec_b32 s7, s6
	s_xor_b32 s6, exec_lo, s7
	s_cbranch_execz .LBB21_511
.LBB21_474:
	s_sext_i32_i16 s8, s5
	s_mov_b32 s7, -1
	s_cmp_lt_i32 s8, 5
	s_cbranch_scc1 .LBB21_495
; %bb.475:
	s_cmp_lt_i32 s8, 8
	s_cbranch_scc1 .LBB21_485
; %bb.476:
	;; [unrolled: 3-line block ×3, first 2 shown]
	s_cmp_gt_i32 s8, 9
	s_cbranch_scc0 .LBB21_479
; %bb.478:
	v_cvt_f64_f32_e32 v[4:5], v0
	v_mov_b32_e32 v6, 0
	s_mov_b32 s7, 0
	v_mov_b32_e32 v7, v6
	global_store_dwordx4 v[2:3], v[4:7], off
.LBB21_479:
	s_andn2_b32 vcc_lo, exec_lo, s7
	s_cbranch_vccnz .LBB21_481
; %bb.480:
	v_mov_b32_e32 v1, 0
	global_store_dwordx2 v[2:3], v[0:1], off
.LBB21_481:
	s_mov_b32 s7, 0
.LBB21_482:
	s_andn2_b32 vcc_lo, exec_lo, s7
	s_cbranch_vccnz .LBB21_484
; %bb.483:
	v_cvt_f16_f32_e32 v1, v0
	v_and_b32_e32 v1, 0xffff, v1
	global_store_dword v[2:3], v1, off
.LBB21_484:
	s_mov_b32 s7, 0
.LBB21_485:
	s_andn2_b32 vcc_lo, exec_lo, s7
	s_cbranch_vccnz .LBB21_494
; %bb.486:
	s_sext_i32_i16 s8, s5
	s_mov_b32 s7, -1
	s_cmp_lt_i32 s8, 6
	s_cbranch_scc1 .LBB21_492
; %bb.487:
	s_cmp_gt_i32 s8, 6
	s_cbranch_scc0 .LBB21_489
; %bb.488:
	v_cvt_f64_f32_e32 v[4:5], v0
	s_mov_b32 s7, 0
	global_store_dwordx2 v[2:3], v[4:5], off
.LBB21_489:
	s_andn2_b32 vcc_lo, exec_lo, s7
	s_cbranch_vccnz .LBB21_491
; %bb.490:
	global_store_dword v[2:3], v0, off
.LBB21_491:
	s_mov_b32 s7, 0
.LBB21_492:
	s_andn2_b32 vcc_lo, exec_lo, s7
	s_cbranch_vccnz .LBB21_494
; %bb.493:
	v_cvt_f16_f32_e32 v1, v0
	global_store_short v[2:3], v1, off
.LBB21_494:
	s_mov_b32 s7, 0
.LBB21_495:
	s_andn2_b32 vcc_lo, exec_lo, s7
	s_cbranch_vccnz .LBB21_511
; %bb.496:
	s_sext_i32_i16 s8, s5
	s_mov_b32 s7, -1
	s_cmp_lt_i32 s8, 2
	s_cbranch_scc1 .LBB21_506
; %bb.497:
	s_cmp_lt_i32 s8, 3
	s_cbranch_scc1 .LBB21_503
; %bb.498:
	s_cmp_gt_i32 s8, 3
	s_cbranch_scc0 .LBB21_500
; %bb.499:
	v_trunc_f32_e32 v1, v0
	s_mov_b32 s7, 0
	v_mul_f32_e64 v4, 0x2f800000, |v1|
	v_floor_f32_e32 v4, v4
	v_fma_f32 v5, 0xcf800000, v4, |v1|
	v_ashrrev_i32_e32 v1, 31, v1
	v_cvt_u32_f32_e32 v4, v4
	v_cvt_u32_f32_e32 v5, v5
	v_xor_b32_e32 v6, v4, v1
	v_xor_b32_e32 v5, v5, v1
	v_sub_co_u32 v4, vcc_lo, v5, v1
	v_sub_co_ci_u32_e64 v5, null, v6, v1, vcc_lo
	global_store_dwordx2 v[2:3], v[4:5], off
.LBB21_500:
	s_andn2_b32 vcc_lo, exec_lo, s7
	s_cbranch_vccnz .LBB21_502
; %bb.501:
	v_cvt_i32_f32_e32 v1, v0
	global_store_dword v[2:3], v1, off
.LBB21_502:
	s_mov_b32 s7, 0
.LBB21_503:
	s_andn2_b32 vcc_lo, exec_lo, s7
	s_cbranch_vccnz .LBB21_505
; %bb.504:
	v_cvt_i32_f32_e32 v1, v0
	global_store_short v[2:3], v1, off
.LBB21_505:
	s_mov_b32 s7, 0
.LBB21_506:
	s_andn2_b32 vcc_lo, exec_lo, s7
	s_cbranch_vccnz .LBB21_511
; %bb.507:
	s_sext_i32_i16 s5, s5
	s_cmp_gt_i32 s5, 0
	s_mov_b32 s5, -1
	s_cbranch_scc0 .LBB21_509
; %bb.508:
	v_cvt_i32_f32_e32 v1, v0
	s_mov_b32 s5, 0
	global_store_byte v[2:3], v1, off
.LBB21_509:
	s_andn2_b32 vcc_lo, exec_lo, s5
	s_cbranch_vccnz .LBB21_511
; %bb.510:
	v_trunc_f32_e32 v0, v0
	v_mul_f32_e64 v1, 0x2f800000, |v0|
	v_floor_f32_e32 v1, v1
	v_fma_f32 v1, 0xcf800000, v1, |v0|
	v_ashrrev_i32_e32 v0, 31, v0
	v_cvt_u32_f32_e32 v1, v1
	v_xor_b32_e32 v1, v1, v0
	v_sub_nc_u32_e32 v0, v1, v0
	global_store_byte v[2:3], v0, off
.LBB21_511:
	s_or_b32 exec_lo, exec_lo, s6
	s_and_b32 s25, s4, exec_lo
                                        ; implicit-def: $vgpr32
                                        ; implicit-def: $vgpr33
                                        ; implicit-def: $vgpr34
.LBB21_512:
	s_or_saveexec_b32 s24, s24
	s_mov_b32 s4, 0
                                        ; implicit-def: $sgpr5
                                        ; implicit-def: $vgpr2_vgpr3
                                        ; implicit-def: $vgpr0
	s_xor_b32 exec_lo, exec_lo, s24
	s_cbranch_execz .LBB21_945
; %bb.513:
	v_mov_b32_e32 v0, s18
	v_mov_b32_e32 v1, s19
	;; [unrolled: 1-line block ×5, first 2 shown]
	s_getpc_b64 s[26:27]
	s_add_u32 s26, s26, _ZN2at6native6invokeIZZZNS0_12_GLOBAL__N_121bessel_y1_kernel_cudaERNS_18TensorIteratorBaseEENKUlvE_clEvENKUlvE0_clEvEUlfE_i15function_traitsIS7_EEENT1_11result_typeERKT_PrKPcPKT0_PKN3c1010ScalarTypeEi@rel32@lo+4
	s_addc_u32 s27, s27, _ZN2at6native6invokeIZZZNS0_12_GLOBAL__N_121bessel_y1_kernel_cudaERNS_18TensorIteratorBaseEENKUlvE_clEvENKUlvE0_clEvEUlfE_i15function_traitsIS7_EEENT1_11result_typeERKT_PrKPcPKT0_PKN3c1010ScalarTypeEi@rel32@hi+12
	v_add_nc_u32_e32 v29, 0x80, v32
	v_add_nc_u32_e32 v35, 0x100, v32
	s_swappc_b64 s[30:31], s[26:27]
	v_mov_b32_e32 v31, v0
	v_mov_b32_e32 v0, s18
	v_mov_b32_e32 v1, s19
	v_mov_b32_e32 v2, s21
	v_mov_b32_e32 v3, v33
	v_mov_b32_e32 v4, v29
	s_swappc_b64 s[30:31], s[26:27]
	v_mov_b32_e32 v30, v0
	v_mov_b32_e32 v0, s18
	v_mov_b32_e32 v1, s19
	v_mov_b32_e32 v2, s21
	v_mov_b32_e32 v3, v33
	v_mov_b32_e32 v4, v35
	s_swappc_b64 s[30:31], s[26:27]
	v_mov_b32_e32 v29, v0
	v_mov_b32_e32 v0, s18
	v_mov_b32_e32 v1, s19
	v_mov_b32_e32 v2, s21
	v_mov_b32_e32 v3, v33
	v_mov_b32_e32 v4, v34
	s_swappc_b64 s[30:31], s[26:27]
	v_mul_lo_u32 v3, s20, v32
	s_and_b32 s5, s22, 0xff
	s_cmp_lt_i32 s5, 11
	v_ashrrev_i32_e32 v2, 31, v3
	v_add_co_u32 v1, vcc_lo, s16, v3
	v_add_co_ci_u32_e64 v2, null, s17, v2, vcc_lo
	s_cbranch_scc1 .LBB21_592
; %bb.514:
	s_and_b32 s6, 0xffff, s5
	s_mov_b32 s9, -1
	s_mov_b32 s7, 0
	s_cmp_gt_i32 s6, 25
	s_mov_b32 s8, 0
	s_mov_b32 s4, 0
	s_cbranch_scc0 .LBB21_547
; %bb.515:
	s_cmp_gt_i32 s6, 28
	s_cbranch_scc0 .LBB21_530
; %bb.516:
	s_cmp_gt_i32 s6, 43
	;; [unrolled: 3-line block ×3, first 2 shown]
	s_cbranch_scc0 .LBB21_520
; %bb.518:
	s_mov_b32 s4, -1
	s_mov_b32 s9, 0
	s_cmp_eq_u32 s6, 46
	s_cbranch_scc0 .LBB21_520
; %bb.519:
	v_bfe_u32 v4, v31, 16, 1
	v_cmp_o_f32_e32 vcc_lo, v31, v31
	v_mov_b32_e32 v5, 0x7fc0
	s_mov_b32 s4, 0
	s_mov_b32 s8, -1
	v_add3_u32 v4, v31, v4, 0x7fff
	v_cndmask_b32_sdwa v4, v5, v4, vcc_lo dst_sel:DWORD dst_unused:UNUSED_PAD src0_sel:DWORD src1_sel:WORD_1
	global_store_dword v[1:2], v4, off
.LBB21_520:
	s_and_b32 vcc_lo, exec_lo, s9
	s_cbranch_vccz .LBB21_525
; %bb.521:
	s_cmp_eq_u32 s6, 44
	s_mov_b32 s4, -1
	s_cbranch_scc0 .LBB21_525
; %bb.522:
	v_bfe_u32 v5, v31, 23, 8
	v_mov_b32_e32 v4, 0xff
	s_mov_b32 s8, exec_lo
	v_cmpx_ne_u32_e32 0xff, v5
	s_cbranch_execz .LBB21_524
; %bb.523:
	v_and_b32_e32 v4, 0x400000, v31
	v_and_or_b32 v5, 0x3fffff, v31, v5
	v_cmp_ne_u32_e32 vcc_lo, 0, v4
	v_cmp_ne_u32_e64 s4, 0, v5
	v_lshrrev_b32_e32 v4, 23, v31
	s_and_b32 s4, vcc_lo, s4
	v_cndmask_b32_e64 v5, 0, 1, s4
	v_add_nc_u32_e32 v4, v4, v5
.LBB21_524:
	s_or_b32 exec_lo, exec_lo, s8
	s_mov_b32 s4, 0
	s_mov_b32 s8, -1
	global_store_byte v[1:2], v4, off
.LBB21_525:
	s_mov_b32 s9, 0
.LBB21_526:
	s_and_b32 vcc_lo, exec_lo, s9
	s_cbranch_vccz .LBB21_529
; %bb.527:
	s_cmp_eq_u32 s6, 29
	s_mov_b32 s4, -1
	s_cbranch_scc0 .LBB21_529
; %bb.528:
	v_trunc_f32_e32 v4, v31
	s_mov_b32 s4, 0
	s_mov_b32 s8, -1
	v_mul_f32_e32 v5, 0x2f800000, v4
	v_floor_f32_e32 v5, v5
	v_fmamk_f32 v4, v5, 0xcf800000, v4
	v_cvt_u32_f32_e32 v5, v5
	v_cvt_u32_f32_e32 v4, v4
	global_store_dwordx2 v[1:2], v[4:5], off
.LBB21_529:
	s_mov_b32 s9, 0
.LBB21_530:
	s_and_b32 vcc_lo, exec_lo, s9
	s_cbranch_vccz .LBB21_546
; %bb.531:
	s_cmp_lt_i32 s6, 27
	s_mov_b32 s8, -1
	s_cbranch_scc1 .LBB21_537
; %bb.532:
	v_cvt_u32_f32_e32 v4, v31
	s_cmp_gt_i32 s6, 27
	s_cbranch_scc0 .LBB21_534
; %bb.533:
	s_mov_b32 s8, 0
	global_store_dword v[1:2], v4, off
.LBB21_534:
	s_andn2_b32 vcc_lo, exec_lo, s8
	s_cbranch_vccnz .LBB21_536
; %bb.535:
	global_store_short v[1:2], v4, off
.LBB21_536:
	s_mov_b32 s8, 0
.LBB21_537:
	s_andn2_b32 vcc_lo, exec_lo, s8
	s_cbranch_vccnz .LBB21_545
; %bb.538:
	v_and_b32_e32 v4, 0x7fffffff, v31
	v_mov_b32_e32 v5, 0x80
	s_mov_b32 s8, exec_lo
	v_cmpx_gt_u32_e32 0x43800000, v4
	s_cbranch_execz .LBB21_544
; %bb.539:
	v_cmp_lt_u32_e32 vcc_lo, 0x3bffffff, v4
	s_mov_b32 s9, 0
                                        ; implicit-def: $vgpr4
	s_and_saveexec_b32 s10, vcc_lo
	s_xor_b32 s10, exec_lo, s10
	s_cbranch_execz .LBB21_989
; %bb.540:
	v_bfe_u32 v4, v31, 20, 1
	s_mov_b32 s9, exec_lo
	v_add3_u32 v4, v31, v4, 0x487ffff
	v_lshrrev_b32_e32 v4, 20, v4
	s_andn2_saveexec_b32 s10, s10
	s_cbranch_execnz .LBB21_990
.LBB21_541:
	s_or_b32 exec_lo, exec_lo, s10
	v_mov_b32_e32 v5, 0
	s_and_saveexec_b32 s10, s9
.LBB21_542:
	v_lshrrev_b32_e32 v5, 24, v31
	v_and_or_b32 v5, 0x80, v5, v4
.LBB21_543:
	s_or_b32 exec_lo, exec_lo, s10
.LBB21_544:
	s_or_b32 exec_lo, exec_lo, s8
	global_store_byte v[1:2], v5, off
.LBB21_545:
	s_mov_b32 s8, -1
.LBB21_546:
	s_mov_b32 s9, 0
.LBB21_547:
	s_and_b32 vcc_lo, exec_lo, s9
	s_cbranch_vccz .LBB21_587
; %bb.548:
	s_cmp_gt_i32 s6, 22
	s_mov_b32 s7, -1
	s_cbranch_scc0 .LBB21_580
; %bb.549:
	s_cmp_lt_i32 s6, 24
	s_cbranch_scc1 .LBB21_569
; %bb.550:
	s_cmp_gt_i32 s6, 24
	s_cbranch_scc0 .LBB21_558
; %bb.551:
	v_and_b32_e32 v4, 0x7fffffff, v31
	v_mov_b32_e32 v5, 0x80
	s_mov_b32 s7, exec_lo
	v_cmpx_gt_u32_e32 0x47800000, v4
	s_cbranch_execz .LBB21_557
; %bb.552:
	v_cmp_lt_u32_e32 vcc_lo, 0x37ffffff, v4
	s_mov_b32 s8, 0
                                        ; implicit-def: $vgpr4
	s_and_saveexec_b32 s9, vcc_lo
	s_xor_b32 s9, exec_lo, s9
	s_cbranch_execz .LBB21_992
; %bb.553:
	v_bfe_u32 v4, v31, 21, 1
	s_mov_b32 s8, exec_lo
	v_add3_u32 v4, v31, v4, 0x88fffff
	v_lshrrev_b32_e32 v4, 21, v4
	s_andn2_saveexec_b32 s9, s9
	s_cbranch_execnz .LBB21_993
.LBB21_554:
	s_or_b32 exec_lo, exec_lo, s9
	v_mov_b32_e32 v5, 0
	s_and_saveexec_b32 s9, s8
.LBB21_555:
	v_lshrrev_b32_e32 v5, 24, v31
	v_and_or_b32 v5, 0x80, v5, v4
.LBB21_556:
	s_or_b32 exec_lo, exec_lo, s9
.LBB21_557:
	s_or_b32 exec_lo, exec_lo, s7
	s_mov_b32 s7, 0
	global_store_byte v[1:2], v5, off
.LBB21_558:
	s_and_b32 vcc_lo, exec_lo, s7
	s_cbranch_vccz .LBB21_568
; %bb.559:
	v_and_b32_e32 v5, 0x7fffffff, v31
	s_mov_b32 s7, exec_lo
                                        ; implicit-def: $vgpr4
	v_cmpx_gt_u32_e32 0x43f00000, v5
	s_xor_b32 s7, exec_lo, s7
	s_cbranch_execz .LBB21_565
; %bb.560:
	s_mov_b32 s8, exec_lo
                                        ; implicit-def: $vgpr4
	v_cmpx_lt_u32_e32 0x3c7fffff, v5
	s_xor_b32 s8, exec_lo, s8
; %bb.561:
	v_bfe_u32 v4, v31, 20, 1
	v_add3_u32 v4, v31, v4, 0x407ffff
	v_and_b32_e32 v5, 0xff00000, v4
	v_lshrrev_b32_e32 v4, 20, v4
	v_cmp_ne_u32_e32 vcc_lo, 0x7f00000, v5
	v_cndmask_b32_e32 v4, 0x7e, v4, vcc_lo
; %bb.562:
	s_andn2_saveexec_b32 s8, s8
; %bb.563:
	v_add_f32_e64 v4, 0x46800000, |v31|
; %bb.564:
	s_or_b32 exec_lo, exec_lo, s8
                                        ; implicit-def: $vgpr5
.LBB21_565:
	s_andn2_saveexec_b32 s7, s7
; %bb.566:
	v_mov_b32_e32 v4, 0x7f
	v_cmp_lt_u32_e32 vcc_lo, 0x7f800000, v5
	v_cndmask_b32_e32 v4, 0x7e, v4, vcc_lo
; %bb.567:
	s_or_b32 exec_lo, exec_lo, s7
	v_lshrrev_b32_e32 v5, 24, v31
	v_and_or_b32 v4, 0x80, v5, v4
	global_store_byte v[1:2], v4, off
.LBB21_568:
	s_mov_b32 s7, 0
.LBB21_569:
	s_andn2_b32 vcc_lo, exec_lo, s7
	s_cbranch_vccnz .LBB21_579
; %bb.570:
	v_and_b32_e32 v5, 0x7fffffff, v31
	s_mov_b32 s7, exec_lo
                                        ; implicit-def: $vgpr4
	v_cmpx_gt_u32_e32 0x47800000, v5
	s_xor_b32 s7, exec_lo, s7
	s_cbranch_execz .LBB21_576
; %bb.571:
	s_mov_b32 s8, exec_lo
                                        ; implicit-def: $vgpr4
	v_cmpx_lt_u32_e32 0x387fffff, v5
	s_xor_b32 s8, exec_lo, s8
; %bb.572:
	v_bfe_u32 v4, v31, 21, 1
	v_add3_u32 v4, v31, v4, 0x80fffff
	v_lshrrev_b32_e32 v4, 21, v4
; %bb.573:
	s_andn2_saveexec_b32 s8, s8
; %bb.574:
	v_add_f32_e64 v4, 0x43000000, |v31|
; %bb.575:
	s_or_b32 exec_lo, exec_lo, s8
                                        ; implicit-def: $vgpr5
.LBB21_576:
	s_andn2_saveexec_b32 s7, s7
; %bb.577:
	v_mov_b32_e32 v4, 0x7f
	v_cmp_lt_u32_e32 vcc_lo, 0x7f800000, v5
	v_cndmask_b32_e32 v4, 0x7c, v4, vcc_lo
; %bb.578:
	s_or_b32 exec_lo, exec_lo, s7
	v_lshrrev_b32_e32 v5, 24, v31
	v_and_or_b32 v4, 0x80, v5, v4
	global_store_byte v[1:2], v4, off
.LBB21_579:
	s_mov_b32 s7, 0
	s_mov_b32 s8, -1
.LBB21_580:
	s_andn2_b32 vcc_lo, exec_lo, s7
	s_mov_b32 s7, 0
	s_cbranch_vccnz .LBB21_587
; %bb.581:
	s_cmp_gt_i32 s6, 14
	s_mov_b32 s7, -1
	s_cbranch_scc0 .LBB21_585
; %bb.582:
	s_cmp_eq_u32 s6, 15
	s_mov_b32 s4, -1
	s_cbranch_scc0 .LBB21_584
; %bb.583:
	v_bfe_u32 v4, v31, 16, 1
	v_cmp_o_f32_e32 vcc_lo, v31, v31
	v_mov_b32_e32 v5, 0x7fc0
	s_mov_b32 s4, 0
	s_mov_b32 s8, -1
	v_add3_u32 v4, v31, v4, 0x7fff
	v_cndmask_b32_sdwa v4, v5, v4, vcc_lo dst_sel:DWORD dst_unused:UNUSED_PAD src0_sel:DWORD src1_sel:WORD_1
	global_store_short v[1:2], v4, off
.LBB21_584:
	s_mov_b32 s7, 0
.LBB21_585:
	s_and_b32 vcc_lo, exec_lo, s7
	s_mov_b32 s7, 0
	s_cbranch_vccz .LBB21_587
; %bb.586:
	s_cmp_lg_u32 s6, 11
	s_mov_b32 s7, -1
	s_cselect_b32 s4, -1, 0
.LBB21_587:
	s_and_b32 vcc_lo, exec_lo, s4
	s_mov_b32 s6, s25
	s_cbranch_vccnz .LBB21_991
; %bb.588:
	s_andn2_b32 vcc_lo, exec_lo, s7
	s_cbranch_vccnz .LBB21_590
.LBB21_589:
	v_cmp_neq_f32_e32 vcc_lo, 0, v31
	s_mov_b32 s8, -1
	v_cndmask_b32_e64 v4, 0, 1, vcc_lo
	global_store_byte v[1:2], v4, off
.LBB21_590:
.LBB21_591:
	s_andn2_b32 vcc_lo, exec_lo, s8
	s_cbranch_vccz .LBB21_631
	s_branch .LBB21_943
.LBB21_592:
	s_mov_b32 s8, 0
	s_mov_b32 s6, s25
	s_cbranch_execz .LBB21_591
; %bb.593:
	s_and_b32 s4, 0xffff, s5
	s_mov_b32 s7, -1
	s_cmp_lt_i32 s4, 5
	s_cbranch_scc1 .LBB21_614
; %bb.594:
	s_cmp_lt_i32 s4, 8
	s_cbranch_scc1 .LBB21_604
; %bb.595:
	;; [unrolled: 3-line block ×3, first 2 shown]
	s_cmp_gt_i32 s4, 9
	s_cbranch_scc0 .LBB21_598
; %bb.597:
	v_cvt_f64_f32_e32 v[4:5], v31
	v_mov_b32_e32 v6, 0
	s_mov_b32 s7, 0
	v_mov_b32_e32 v7, v6
	global_store_dwordx4 v[1:2], v[4:7], off
.LBB21_598:
	s_andn2_b32 vcc_lo, exec_lo, s7
	s_cbranch_vccnz .LBB21_600
; %bb.599:
	v_mov_b32_e32 v32, 0
	global_store_dwordx2 v[1:2], v[31:32], off
.LBB21_600:
	s_mov_b32 s7, 0
.LBB21_601:
	s_andn2_b32 vcc_lo, exec_lo, s7
	s_cbranch_vccnz .LBB21_603
; %bb.602:
	v_cvt_f16_f32_e32 v4, v31
	v_and_b32_e32 v4, 0xffff, v4
	global_store_dword v[1:2], v4, off
.LBB21_603:
	s_mov_b32 s7, 0
.LBB21_604:
	s_andn2_b32 vcc_lo, exec_lo, s7
	s_cbranch_vccnz .LBB21_613
; %bb.605:
	s_cmp_lt_i32 s4, 6
	s_mov_b32 s7, -1
	s_cbranch_scc1 .LBB21_611
; %bb.606:
	s_cmp_gt_i32 s4, 6
	s_cbranch_scc0 .LBB21_608
; %bb.607:
	v_cvt_f64_f32_e32 v[4:5], v31
	s_mov_b32 s7, 0
	global_store_dwordx2 v[1:2], v[4:5], off
.LBB21_608:
	s_andn2_b32 vcc_lo, exec_lo, s7
	s_cbranch_vccnz .LBB21_610
; %bb.609:
	global_store_dword v[1:2], v31, off
.LBB21_610:
	s_mov_b32 s7, 0
.LBB21_611:
	s_andn2_b32 vcc_lo, exec_lo, s7
	s_cbranch_vccnz .LBB21_613
; %bb.612:
	v_cvt_f16_f32_e32 v4, v31
	global_store_short v[1:2], v4, off
.LBB21_613:
	s_mov_b32 s7, 0
.LBB21_614:
	s_andn2_b32 vcc_lo, exec_lo, s7
	s_cbranch_vccnz .LBB21_630
; %bb.615:
	s_cmp_lt_i32 s4, 2
	s_mov_b32 s7, -1
	s_cbranch_scc1 .LBB21_625
; %bb.616:
	s_cmp_lt_i32 s4, 3
	s_cbranch_scc1 .LBB21_622
; %bb.617:
	s_cmp_gt_i32 s4, 3
	s_cbranch_scc0 .LBB21_619
; %bb.618:
	v_trunc_f32_e32 v4, v31
	s_mov_b32 s7, 0
	v_mul_f32_e64 v5, 0x2f800000, |v4|
	v_ashrrev_i32_e32 v7, 31, v4
	v_floor_f32_e32 v5, v5
	v_fma_f32 v6, 0xcf800000, v5, |v4|
	v_cvt_u32_f32_e32 v5, v5
	v_cvt_u32_f32_e32 v4, v6
	v_xor_b32_e32 v5, v5, v7
	v_xor_b32_e32 v4, v4, v7
	v_sub_co_u32 v4, vcc_lo, v4, v7
	v_sub_co_ci_u32_e64 v5, null, v5, v7, vcc_lo
	global_store_dwordx2 v[1:2], v[4:5], off
.LBB21_619:
	s_andn2_b32 vcc_lo, exec_lo, s7
	s_cbranch_vccnz .LBB21_621
; %bb.620:
	v_cvt_i32_f32_e32 v4, v31
	global_store_dword v[1:2], v4, off
.LBB21_621:
	s_mov_b32 s7, 0
.LBB21_622:
	s_andn2_b32 vcc_lo, exec_lo, s7
	s_cbranch_vccnz .LBB21_624
; %bb.623:
	v_cvt_i32_f32_e32 v4, v31
	global_store_short v[1:2], v4, off
.LBB21_624:
	s_mov_b32 s7, 0
.LBB21_625:
	s_andn2_b32 vcc_lo, exec_lo, s7
	s_cbranch_vccnz .LBB21_630
; %bb.626:
	s_cmp_gt_i32 s4, 0
	s_mov_b32 s4, -1
	s_cbranch_scc0 .LBB21_628
; %bb.627:
	v_cvt_i32_f32_e32 v4, v31
	s_mov_b32 s4, 0
	global_store_byte v[1:2], v4, off
.LBB21_628:
	s_andn2_b32 vcc_lo, exec_lo, s4
	s_cbranch_vccnz .LBB21_630
; %bb.629:
	v_trunc_f32_e32 v4, v31
	v_mul_f32_e64 v5, 0x2f800000, |v4|
	v_floor_f32_e32 v5, v5
	v_fma_f32 v5, 0xcf800000, v5, |v4|
	v_ashrrev_i32_e32 v4, 31, v4
	v_cvt_u32_f32_e32 v5, v5
	v_xor_b32_e32 v5, v5, v4
	v_sub_nc_u32_e32 v4, v5, v4
	global_store_byte v[1:2], v4, off
.LBB21_630:
.LBB21_631:
	s_lshl_b32 s7, s20, 7
	s_cmp_lt_i32 s5, 11
	v_add_nc_u32_e32 v3, s7, v3
	v_ashrrev_i32_e32 v2, 31, v3
	v_add_co_u32 v1, vcc_lo, s16, v3
	v_add_co_ci_u32_e64 v2, null, s17, v2, vcc_lo
	s_cbranch_scc1 .LBB21_710
; %bb.632:
	s_and_b32 s8, 0xffff, s5
	s_mov_b32 s11, -1
	s_mov_b32 s9, 0
	s_cmp_gt_i32 s8, 25
	s_mov_b32 s10, 0
	s_mov_b32 s4, 0
	s_cbranch_scc0 .LBB21_665
; %bb.633:
	s_cmp_gt_i32 s8, 28
	s_cbranch_scc0 .LBB21_648
; %bb.634:
	s_cmp_gt_i32 s8, 43
	;; [unrolled: 3-line block ×3, first 2 shown]
	s_cbranch_scc0 .LBB21_638
; %bb.636:
	s_mov_b32 s4, -1
	s_mov_b32 s11, 0
	s_cmp_eq_u32 s8, 46
	s_cbranch_scc0 .LBB21_638
; %bb.637:
	v_bfe_u32 v4, v30, 16, 1
	v_cmp_o_f32_e32 vcc_lo, v30, v30
	v_mov_b32_e32 v5, 0x7fc0
	s_mov_b32 s4, 0
	s_mov_b32 s10, -1
	v_add3_u32 v4, v30, v4, 0x7fff
	v_cndmask_b32_sdwa v4, v5, v4, vcc_lo dst_sel:DWORD dst_unused:UNUSED_PAD src0_sel:DWORD src1_sel:WORD_1
	global_store_dword v[1:2], v4, off
.LBB21_638:
	s_and_b32 vcc_lo, exec_lo, s11
	s_cbranch_vccz .LBB21_643
; %bb.639:
	s_cmp_eq_u32 s8, 44
	s_mov_b32 s4, -1
	s_cbranch_scc0 .LBB21_643
; %bb.640:
	v_bfe_u32 v5, v30, 23, 8
	v_mov_b32_e32 v4, 0xff
	s_mov_b32 s10, exec_lo
	v_cmpx_ne_u32_e32 0xff, v5
	s_cbranch_execz .LBB21_642
; %bb.641:
	v_and_b32_e32 v4, 0x400000, v30
	v_and_or_b32 v5, 0x3fffff, v30, v5
	v_cmp_ne_u32_e32 vcc_lo, 0, v4
	v_cmp_ne_u32_e64 s4, 0, v5
	v_lshrrev_b32_e32 v4, 23, v30
	s_and_b32 s4, vcc_lo, s4
	v_cndmask_b32_e64 v5, 0, 1, s4
	v_add_nc_u32_e32 v4, v4, v5
.LBB21_642:
	s_or_b32 exec_lo, exec_lo, s10
	s_mov_b32 s4, 0
	s_mov_b32 s10, -1
	global_store_byte v[1:2], v4, off
.LBB21_643:
	s_mov_b32 s11, 0
.LBB21_644:
	s_and_b32 vcc_lo, exec_lo, s11
	s_cbranch_vccz .LBB21_647
; %bb.645:
	s_cmp_eq_u32 s8, 29
	s_mov_b32 s4, -1
	s_cbranch_scc0 .LBB21_647
; %bb.646:
	v_trunc_f32_e32 v4, v30
	s_mov_b32 s4, 0
	s_mov_b32 s10, -1
	v_mul_f32_e32 v5, 0x2f800000, v4
	v_floor_f32_e32 v5, v5
	v_fmamk_f32 v4, v5, 0xcf800000, v4
	v_cvt_u32_f32_e32 v5, v5
	v_cvt_u32_f32_e32 v4, v4
	global_store_dwordx2 v[1:2], v[4:5], off
.LBB21_647:
	s_mov_b32 s11, 0
.LBB21_648:
	s_and_b32 vcc_lo, exec_lo, s11
	s_cbranch_vccz .LBB21_664
; %bb.649:
	s_cmp_lt_i32 s8, 27
	s_mov_b32 s10, -1
	s_cbranch_scc1 .LBB21_655
; %bb.650:
	v_cvt_u32_f32_e32 v4, v30
	s_cmp_gt_i32 s8, 27
	s_cbranch_scc0 .LBB21_652
; %bb.651:
	s_mov_b32 s10, 0
	global_store_dword v[1:2], v4, off
.LBB21_652:
	s_andn2_b32 vcc_lo, exec_lo, s10
	s_cbranch_vccnz .LBB21_654
; %bb.653:
	global_store_short v[1:2], v4, off
.LBB21_654:
	s_mov_b32 s10, 0
.LBB21_655:
	s_andn2_b32 vcc_lo, exec_lo, s10
	s_cbranch_vccnz .LBB21_663
; %bb.656:
	v_and_b32_e32 v4, 0x7fffffff, v30
	v_mov_b32_e32 v5, 0x80
	s_mov_b32 s10, exec_lo
	v_cmpx_gt_u32_e32 0x43800000, v4
	s_cbranch_execz .LBB21_662
; %bb.657:
	v_cmp_lt_u32_e32 vcc_lo, 0x3bffffff, v4
	s_mov_b32 s11, 0
                                        ; implicit-def: $vgpr4
	s_and_saveexec_b32 s12, vcc_lo
	s_xor_b32 s12, exec_lo, s12
	s_cbranch_execz .LBB21_994
; %bb.658:
	v_bfe_u32 v4, v30, 20, 1
	s_mov_b32 s11, exec_lo
	v_add3_u32 v4, v30, v4, 0x487ffff
	v_lshrrev_b32_e32 v4, 20, v4
	s_andn2_saveexec_b32 s12, s12
	s_cbranch_execnz .LBB21_995
.LBB21_659:
	s_or_b32 exec_lo, exec_lo, s12
	v_mov_b32_e32 v5, 0
	s_and_saveexec_b32 s12, s11
.LBB21_660:
	v_lshrrev_b32_e32 v5, 24, v30
	v_and_or_b32 v5, 0x80, v5, v4
.LBB21_661:
	s_or_b32 exec_lo, exec_lo, s12
.LBB21_662:
	s_or_b32 exec_lo, exec_lo, s10
	global_store_byte v[1:2], v5, off
.LBB21_663:
	s_mov_b32 s10, -1
.LBB21_664:
	s_mov_b32 s11, 0
.LBB21_665:
	s_and_b32 vcc_lo, exec_lo, s11
	s_cbranch_vccz .LBB21_705
; %bb.666:
	s_cmp_gt_i32 s8, 22
	s_mov_b32 s9, -1
	s_cbranch_scc0 .LBB21_698
; %bb.667:
	s_cmp_lt_i32 s8, 24
	s_cbranch_scc1 .LBB21_687
; %bb.668:
	s_cmp_gt_i32 s8, 24
	s_cbranch_scc0 .LBB21_676
; %bb.669:
	v_and_b32_e32 v4, 0x7fffffff, v30
	v_mov_b32_e32 v5, 0x80
	s_mov_b32 s9, exec_lo
	v_cmpx_gt_u32_e32 0x47800000, v4
	s_cbranch_execz .LBB21_675
; %bb.670:
	v_cmp_lt_u32_e32 vcc_lo, 0x37ffffff, v4
	s_mov_b32 s10, 0
                                        ; implicit-def: $vgpr4
	s_and_saveexec_b32 s11, vcc_lo
	s_xor_b32 s11, exec_lo, s11
	s_cbranch_execz .LBB21_997
; %bb.671:
	v_bfe_u32 v4, v30, 21, 1
	s_mov_b32 s10, exec_lo
	v_add3_u32 v4, v30, v4, 0x88fffff
	v_lshrrev_b32_e32 v4, 21, v4
	s_andn2_saveexec_b32 s11, s11
	s_cbranch_execnz .LBB21_998
.LBB21_672:
	s_or_b32 exec_lo, exec_lo, s11
	v_mov_b32_e32 v5, 0
	s_and_saveexec_b32 s11, s10
.LBB21_673:
	v_lshrrev_b32_e32 v5, 24, v30
	v_and_or_b32 v5, 0x80, v5, v4
.LBB21_674:
	s_or_b32 exec_lo, exec_lo, s11
.LBB21_675:
	s_or_b32 exec_lo, exec_lo, s9
	s_mov_b32 s9, 0
	global_store_byte v[1:2], v5, off
.LBB21_676:
	s_and_b32 vcc_lo, exec_lo, s9
	s_cbranch_vccz .LBB21_686
; %bb.677:
	v_and_b32_e32 v5, 0x7fffffff, v30
	s_mov_b32 s9, exec_lo
                                        ; implicit-def: $vgpr4
	v_cmpx_gt_u32_e32 0x43f00000, v5
	s_xor_b32 s9, exec_lo, s9
	s_cbranch_execz .LBB21_683
; %bb.678:
	s_mov_b32 s10, exec_lo
                                        ; implicit-def: $vgpr4
	v_cmpx_lt_u32_e32 0x3c7fffff, v5
	s_xor_b32 s10, exec_lo, s10
; %bb.679:
	v_bfe_u32 v4, v30, 20, 1
	v_add3_u32 v4, v30, v4, 0x407ffff
	v_and_b32_e32 v5, 0xff00000, v4
	v_lshrrev_b32_e32 v4, 20, v4
	v_cmp_ne_u32_e32 vcc_lo, 0x7f00000, v5
	v_cndmask_b32_e32 v4, 0x7e, v4, vcc_lo
; %bb.680:
	s_andn2_saveexec_b32 s10, s10
; %bb.681:
	v_add_f32_e64 v4, 0x46800000, |v30|
; %bb.682:
	s_or_b32 exec_lo, exec_lo, s10
                                        ; implicit-def: $vgpr5
.LBB21_683:
	s_andn2_saveexec_b32 s9, s9
; %bb.684:
	v_mov_b32_e32 v4, 0x7f
	v_cmp_lt_u32_e32 vcc_lo, 0x7f800000, v5
	v_cndmask_b32_e32 v4, 0x7e, v4, vcc_lo
; %bb.685:
	s_or_b32 exec_lo, exec_lo, s9
	v_lshrrev_b32_e32 v5, 24, v30
	v_and_or_b32 v4, 0x80, v5, v4
	global_store_byte v[1:2], v4, off
.LBB21_686:
	s_mov_b32 s9, 0
.LBB21_687:
	s_andn2_b32 vcc_lo, exec_lo, s9
	s_cbranch_vccnz .LBB21_697
; %bb.688:
	v_and_b32_e32 v5, 0x7fffffff, v30
	s_mov_b32 s9, exec_lo
                                        ; implicit-def: $vgpr4
	v_cmpx_gt_u32_e32 0x47800000, v5
	s_xor_b32 s9, exec_lo, s9
	s_cbranch_execz .LBB21_694
; %bb.689:
	s_mov_b32 s10, exec_lo
                                        ; implicit-def: $vgpr4
	v_cmpx_lt_u32_e32 0x387fffff, v5
	s_xor_b32 s10, exec_lo, s10
; %bb.690:
	v_bfe_u32 v4, v30, 21, 1
	v_add3_u32 v4, v30, v4, 0x80fffff
	v_lshrrev_b32_e32 v4, 21, v4
; %bb.691:
	s_andn2_saveexec_b32 s10, s10
; %bb.692:
	v_add_f32_e64 v4, 0x43000000, |v30|
; %bb.693:
	s_or_b32 exec_lo, exec_lo, s10
                                        ; implicit-def: $vgpr5
.LBB21_694:
	s_andn2_saveexec_b32 s9, s9
; %bb.695:
	v_mov_b32_e32 v4, 0x7f
	v_cmp_lt_u32_e32 vcc_lo, 0x7f800000, v5
	v_cndmask_b32_e32 v4, 0x7c, v4, vcc_lo
; %bb.696:
	s_or_b32 exec_lo, exec_lo, s9
	v_lshrrev_b32_e32 v5, 24, v30
	v_and_or_b32 v4, 0x80, v5, v4
	global_store_byte v[1:2], v4, off
.LBB21_697:
	s_mov_b32 s9, 0
	s_mov_b32 s10, -1
.LBB21_698:
	s_andn2_b32 vcc_lo, exec_lo, s9
	s_mov_b32 s9, 0
	s_cbranch_vccnz .LBB21_705
; %bb.699:
	s_cmp_gt_i32 s8, 14
	s_mov_b32 s9, -1
	s_cbranch_scc0 .LBB21_703
; %bb.700:
	s_cmp_eq_u32 s8, 15
	s_mov_b32 s4, -1
	s_cbranch_scc0 .LBB21_702
; %bb.701:
	v_bfe_u32 v4, v30, 16, 1
	v_cmp_o_f32_e32 vcc_lo, v30, v30
	v_mov_b32_e32 v5, 0x7fc0
	s_mov_b32 s4, 0
	s_mov_b32 s10, -1
	v_add3_u32 v4, v30, v4, 0x7fff
	v_cndmask_b32_sdwa v4, v5, v4, vcc_lo dst_sel:DWORD dst_unused:UNUSED_PAD src0_sel:DWORD src1_sel:WORD_1
	global_store_short v[1:2], v4, off
.LBB21_702:
	s_mov_b32 s9, 0
.LBB21_703:
	s_and_b32 vcc_lo, exec_lo, s9
	s_mov_b32 s9, 0
	s_cbranch_vccz .LBB21_705
; %bb.704:
	s_cmp_lg_u32 s8, 11
	s_mov_b32 s9, -1
	s_cselect_b32 s4, -1, 0
.LBB21_705:
	s_and_b32 vcc_lo, exec_lo, s4
	s_cbranch_vccnz .LBB21_996
; %bb.706:
	s_andn2_b32 vcc_lo, exec_lo, s9
	s_cbranch_vccnz .LBB21_708
.LBB21_707:
	v_cmp_neq_f32_e32 vcc_lo, 0, v30
	s_mov_b32 s10, -1
	v_cndmask_b32_e64 v4, 0, 1, vcc_lo
	global_store_byte v[1:2], v4, off
.LBB21_708:
.LBB21_709:
	s_andn2_b32 vcc_lo, exec_lo, s10
	s_cbranch_vccz .LBB21_749
	s_branch .LBB21_943
.LBB21_710:
	s_mov_b32 s10, 0
	s_cbranch_execz .LBB21_709
; %bb.711:
	s_and_b32 s4, 0xffff, s5
	s_mov_b32 s8, -1
	s_cmp_lt_i32 s4, 5
	s_cbranch_scc1 .LBB21_732
; %bb.712:
	s_cmp_lt_i32 s4, 8
	s_cbranch_scc1 .LBB21_722
; %bb.713:
	;; [unrolled: 3-line block ×3, first 2 shown]
	s_cmp_gt_i32 s4, 9
	s_cbranch_scc0 .LBB21_716
; %bb.715:
	v_cvt_f64_f32_e32 v[4:5], v30
	v_mov_b32_e32 v6, 0
	s_mov_b32 s8, 0
	v_mov_b32_e32 v7, v6
	global_store_dwordx4 v[1:2], v[4:7], off
.LBB21_716:
	s_andn2_b32 vcc_lo, exec_lo, s8
	s_cbranch_vccnz .LBB21_718
; %bb.717:
	v_mov_b32_e32 v31, 0
	global_store_dwordx2 v[1:2], v[30:31], off
.LBB21_718:
	s_mov_b32 s8, 0
.LBB21_719:
	s_andn2_b32 vcc_lo, exec_lo, s8
	s_cbranch_vccnz .LBB21_721
; %bb.720:
	v_cvt_f16_f32_e32 v4, v30
	v_and_b32_e32 v4, 0xffff, v4
	global_store_dword v[1:2], v4, off
.LBB21_721:
	s_mov_b32 s8, 0
.LBB21_722:
	s_andn2_b32 vcc_lo, exec_lo, s8
	s_cbranch_vccnz .LBB21_731
; %bb.723:
	s_cmp_lt_i32 s4, 6
	s_mov_b32 s8, -1
	s_cbranch_scc1 .LBB21_729
; %bb.724:
	s_cmp_gt_i32 s4, 6
	s_cbranch_scc0 .LBB21_726
; %bb.725:
	v_cvt_f64_f32_e32 v[4:5], v30
	s_mov_b32 s8, 0
	global_store_dwordx2 v[1:2], v[4:5], off
.LBB21_726:
	s_andn2_b32 vcc_lo, exec_lo, s8
	s_cbranch_vccnz .LBB21_728
; %bb.727:
	global_store_dword v[1:2], v30, off
.LBB21_728:
	s_mov_b32 s8, 0
.LBB21_729:
	s_andn2_b32 vcc_lo, exec_lo, s8
	s_cbranch_vccnz .LBB21_731
; %bb.730:
	v_cvt_f16_f32_e32 v4, v30
	global_store_short v[1:2], v4, off
.LBB21_731:
	s_mov_b32 s8, 0
.LBB21_732:
	s_andn2_b32 vcc_lo, exec_lo, s8
	s_cbranch_vccnz .LBB21_748
; %bb.733:
	s_cmp_lt_i32 s4, 2
	s_mov_b32 s8, -1
	s_cbranch_scc1 .LBB21_743
; %bb.734:
	s_cmp_lt_i32 s4, 3
	s_cbranch_scc1 .LBB21_740
; %bb.735:
	s_cmp_gt_i32 s4, 3
	s_cbranch_scc0 .LBB21_737
; %bb.736:
	v_trunc_f32_e32 v4, v30
	s_mov_b32 s8, 0
	v_mul_f32_e64 v5, 0x2f800000, |v4|
	v_ashrrev_i32_e32 v7, 31, v4
	v_floor_f32_e32 v5, v5
	v_fma_f32 v6, 0xcf800000, v5, |v4|
	v_cvt_u32_f32_e32 v5, v5
	v_cvt_u32_f32_e32 v4, v6
	v_xor_b32_e32 v5, v5, v7
	v_xor_b32_e32 v4, v4, v7
	v_sub_co_u32 v4, vcc_lo, v4, v7
	v_sub_co_ci_u32_e64 v5, null, v5, v7, vcc_lo
	global_store_dwordx2 v[1:2], v[4:5], off
.LBB21_737:
	s_andn2_b32 vcc_lo, exec_lo, s8
	s_cbranch_vccnz .LBB21_739
; %bb.738:
	v_cvt_i32_f32_e32 v4, v30
	global_store_dword v[1:2], v4, off
.LBB21_739:
	s_mov_b32 s8, 0
.LBB21_740:
	s_andn2_b32 vcc_lo, exec_lo, s8
	s_cbranch_vccnz .LBB21_742
; %bb.741:
	v_cvt_i32_f32_e32 v4, v30
	global_store_short v[1:2], v4, off
.LBB21_742:
	s_mov_b32 s8, 0
.LBB21_743:
	s_andn2_b32 vcc_lo, exec_lo, s8
	s_cbranch_vccnz .LBB21_748
; %bb.744:
	s_cmp_gt_i32 s4, 0
	s_mov_b32 s4, -1
	s_cbranch_scc0 .LBB21_746
; %bb.745:
	v_cvt_i32_f32_e32 v4, v30
	s_mov_b32 s4, 0
	global_store_byte v[1:2], v4, off
.LBB21_746:
	s_andn2_b32 vcc_lo, exec_lo, s4
	s_cbranch_vccnz .LBB21_748
; %bb.747:
	v_trunc_f32_e32 v4, v30
	v_mul_f32_e64 v5, 0x2f800000, |v4|
	v_floor_f32_e32 v5, v5
	v_fma_f32 v5, 0xcf800000, v5, |v4|
	v_ashrrev_i32_e32 v4, 31, v4
	v_cvt_u32_f32_e32 v5, v5
	v_xor_b32_e32 v5, v5, v4
	v_sub_nc_u32_e32 v4, v5, v4
	global_store_byte v[1:2], v4, off
.LBB21_748:
.LBB21_749:
	v_add_nc_u32_e32 v3, s7, v3
	s_cmp_lt_i32 s5, 11
	v_ashrrev_i32_e32 v2, 31, v3
	v_add_co_u32 v1, vcc_lo, s16, v3
	v_add_co_ci_u32_e64 v2, null, s17, v2, vcc_lo
	s_cbranch_scc1 .LBB21_904
; %bb.750:
	s_and_b32 s8, 0xffff, s5
	s_mov_b32 s11, -1
	s_mov_b32 s9, 0
	s_cmp_gt_i32 s8, 25
	s_mov_b32 s10, 0
	s_mov_b32 s4, 0
	s_cbranch_scc0 .LBB21_783
; %bb.751:
	s_cmp_gt_i32 s8, 28
	s_cbranch_scc0 .LBB21_766
; %bb.752:
	s_cmp_gt_i32 s8, 43
	;; [unrolled: 3-line block ×3, first 2 shown]
	s_cbranch_scc0 .LBB21_756
; %bb.754:
	s_mov_b32 s4, -1
	s_mov_b32 s11, 0
	s_cmp_eq_u32 s8, 46
	s_cbranch_scc0 .LBB21_756
; %bb.755:
	v_bfe_u32 v4, v29, 16, 1
	v_cmp_o_f32_e32 vcc_lo, v29, v29
	v_mov_b32_e32 v5, 0x7fc0
	s_mov_b32 s4, 0
	s_mov_b32 s10, -1
	v_add3_u32 v4, v29, v4, 0x7fff
	v_cndmask_b32_sdwa v4, v5, v4, vcc_lo dst_sel:DWORD dst_unused:UNUSED_PAD src0_sel:DWORD src1_sel:WORD_1
	global_store_dword v[1:2], v4, off
.LBB21_756:
	s_and_b32 vcc_lo, exec_lo, s11
	s_cbranch_vccz .LBB21_761
; %bb.757:
	s_cmp_eq_u32 s8, 44
	s_mov_b32 s4, -1
	s_cbranch_scc0 .LBB21_761
; %bb.758:
	v_bfe_u32 v5, v29, 23, 8
	v_mov_b32_e32 v4, 0xff
	s_mov_b32 s10, exec_lo
	v_cmpx_ne_u32_e32 0xff, v5
	s_cbranch_execz .LBB21_760
; %bb.759:
	v_and_b32_e32 v4, 0x400000, v29
	v_and_or_b32 v5, 0x3fffff, v29, v5
	v_cmp_ne_u32_e32 vcc_lo, 0, v4
	v_cmp_ne_u32_e64 s4, 0, v5
	v_lshrrev_b32_e32 v4, 23, v29
	s_and_b32 s4, vcc_lo, s4
	v_cndmask_b32_e64 v5, 0, 1, s4
	v_add_nc_u32_e32 v4, v4, v5
.LBB21_760:
	s_or_b32 exec_lo, exec_lo, s10
	s_mov_b32 s4, 0
	s_mov_b32 s10, -1
	global_store_byte v[1:2], v4, off
.LBB21_761:
	s_mov_b32 s11, 0
.LBB21_762:
	s_and_b32 vcc_lo, exec_lo, s11
	s_cbranch_vccz .LBB21_765
; %bb.763:
	s_cmp_eq_u32 s8, 29
	s_mov_b32 s4, -1
	s_cbranch_scc0 .LBB21_765
; %bb.764:
	v_trunc_f32_e32 v4, v29
	s_mov_b32 s4, 0
	s_mov_b32 s10, -1
	v_mul_f32_e32 v5, 0x2f800000, v4
	v_floor_f32_e32 v5, v5
	v_fmamk_f32 v4, v5, 0xcf800000, v4
	v_cvt_u32_f32_e32 v5, v5
	v_cvt_u32_f32_e32 v4, v4
	global_store_dwordx2 v[1:2], v[4:5], off
.LBB21_765:
	s_mov_b32 s11, 0
.LBB21_766:
	s_and_b32 vcc_lo, exec_lo, s11
	s_cbranch_vccz .LBB21_782
; %bb.767:
	s_cmp_lt_i32 s8, 27
	s_mov_b32 s10, -1
	s_cbranch_scc1 .LBB21_773
; %bb.768:
	v_cvt_u32_f32_e32 v4, v29
	s_cmp_gt_i32 s8, 27
	s_cbranch_scc0 .LBB21_770
; %bb.769:
	s_mov_b32 s10, 0
	global_store_dword v[1:2], v4, off
.LBB21_770:
	s_andn2_b32 vcc_lo, exec_lo, s10
	s_cbranch_vccnz .LBB21_772
; %bb.771:
	global_store_short v[1:2], v4, off
.LBB21_772:
	s_mov_b32 s10, 0
.LBB21_773:
	s_andn2_b32 vcc_lo, exec_lo, s10
	s_cbranch_vccnz .LBB21_781
; %bb.774:
	v_and_b32_e32 v4, 0x7fffffff, v29
	v_mov_b32_e32 v5, 0x80
	s_mov_b32 s10, exec_lo
	v_cmpx_gt_u32_e32 0x43800000, v4
	s_cbranch_execz .LBB21_780
; %bb.775:
	v_cmp_lt_u32_e32 vcc_lo, 0x3bffffff, v4
	s_mov_b32 s11, 0
                                        ; implicit-def: $vgpr4
	s_and_saveexec_b32 s12, vcc_lo
	s_xor_b32 s12, exec_lo, s12
	s_cbranch_execz .LBB21_999
; %bb.776:
	v_bfe_u32 v4, v29, 20, 1
	s_mov_b32 s11, exec_lo
	v_add3_u32 v4, v29, v4, 0x487ffff
	v_lshrrev_b32_e32 v4, 20, v4
	s_andn2_saveexec_b32 s12, s12
	s_cbranch_execnz .LBB21_1000
.LBB21_777:
	s_or_b32 exec_lo, exec_lo, s12
	v_mov_b32_e32 v5, 0
	s_and_saveexec_b32 s12, s11
.LBB21_778:
	v_lshrrev_b32_e32 v5, 24, v29
	v_and_or_b32 v5, 0x80, v5, v4
.LBB21_779:
	s_or_b32 exec_lo, exec_lo, s12
.LBB21_780:
	s_or_b32 exec_lo, exec_lo, s10
	global_store_byte v[1:2], v5, off
.LBB21_781:
	s_mov_b32 s10, -1
.LBB21_782:
	s_mov_b32 s11, 0
.LBB21_783:
	s_and_b32 vcc_lo, exec_lo, s11
	s_cbranch_vccz .LBB21_823
; %bb.784:
	s_cmp_gt_i32 s8, 22
	s_mov_b32 s9, -1
	s_cbranch_scc0 .LBB21_816
; %bb.785:
	s_cmp_lt_i32 s8, 24
	s_cbranch_scc1 .LBB21_805
; %bb.786:
	s_cmp_gt_i32 s8, 24
	s_cbranch_scc0 .LBB21_794
; %bb.787:
	v_and_b32_e32 v4, 0x7fffffff, v29
	v_mov_b32_e32 v5, 0x80
	s_mov_b32 s9, exec_lo
	v_cmpx_gt_u32_e32 0x47800000, v4
	s_cbranch_execz .LBB21_793
; %bb.788:
	v_cmp_lt_u32_e32 vcc_lo, 0x37ffffff, v4
	s_mov_b32 s10, 0
                                        ; implicit-def: $vgpr4
	s_and_saveexec_b32 s11, vcc_lo
	s_xor_b32 s11, exec_lo, s11
	s_cbranch_execz .LBB21_1002
; %bb.789:
	v_bfe_u32 v4, v29, 21, 1
	s_mov_b32 s10, exec_lo
	v_add3_u32 v4, v29, v4, 0x88fffff
	v_lshrrev_b32_e32 v4, 21, v4
	s_andn2_saveexec_b32 s11, s11
	s_cbranch_execnz .LBB21_1003
.LBB21_790:
	s_or_b32 exec_lo, exec_lo, s11
	v_mov_b32_e32 v5, 0
	s_and_saveexec_b32 s11, s10
.LBB21_791:
	v_lshrrev_b32_e32 v5, 24, v29
	v_and_or_b32 v5, 0x80, v5, v4
.LBB21_792:
	s_or_b32 exec_lo, exec_lo, s11
.LBB21_793:
	s_or_b32 exec_lo, exec_lo, s9
	s_mov_b32 s9, 0
	global_store_byte v[1:2], v5, off
.LBB21_794:
	s_and_b32 vcc_lo, exec_lo, s9
	s_cbranch_vccz .LBB21_804
; %bb.795:
	v_and_b32_e32 v5, 0x7fffffff, v29
	s_mov_b32 s9, exec_lo
                                        ; implicit-def: $vgpr4
	v_cmpx_gt_u32_e32 0x43f00000, v5
	s_xor_b32 s9, exec_lo, s9
	s_cbranch_execz .LBB21_801
; %bb.796:
	s_mov_b32 s10, exec_lo
                                        ; implicit-def: $vgpr4
	v_cmpx_lt_u32_e32 0x3c7fffff, v5
	s_xor_b32 s10, exec_lo, s10
; %bb.797:
	v_bfe_u32 v4, v29, 20, 1
	v_add3_u32 v4, v29, v4, 0x407ffff
	v_and_b32_e32 v5, 0xff00000, v4
	v_lshrrev_b32_e32 v4, 20, v4
	v_cmp_ne_u32_e32 vcc_lo, 0x7f00000, v5
	v_cndmask_b32_e32 v4, 0x7e, v4, vcc_lo
; %bb.798:
	s_andn2_saveexec_b32 s10, s10
; %bb.799:
	v_add_f32_e64 v4, 0x46800000, |v29|
; %bb.800:
	s_or_b32 exec_lo, exec_lo, s10
                                        ; implicit-def: $vgpr5
.LBB21_801:
	s_andn2_saveexec_b32 s9, s9
; %bb.802:
	v_mov_b32_e32 v4, 0x7f
	v_cmp_lt_u32_e32 vcc_lo, 0x7f800000, v5
	v_cndmask_b32_e32 v4, 0x7e, v4, vcc_lo
; %bb.803:
	s_or_b32 exec_lo, exec_lo, s9
	v_lshrrev_b32_e32 v5, 24, v29
	v_and_or_b32 v4, 0x80, v5, v4
	global_store_byte v[1:2], v4, off
.LBB21_804:
	s_mov_b32 s9, 0
.LBB21_805:
	s_andn2_b32 vcc_lo, exec_lo, s9
	s_cbranch_vccnz .LBB21_815
; %bb.806:
	v_and_b32_e32 v5, 0x7fffffff, v29
	s_mov_b32 s9, exec_lo
                                        ; implicit-def: $vgpr4
	v_cmpx_gt_u32_e32 0x47800000, v5
	s_xor_b32 s9, exec_lo, s9
	s_cbranch_execz .LBB21_812
; %bb.807:
	s_mov_b32 s10, exec_lo
                                        ; implicit-def: $vgpr4
	v_cmpx_lt_u32_e32 0x387fffff, v5
	s_xor_b32 s10, exec_lo, s10
; %bb.808:
	v_bfe_u32 v4, v29, 21, 1
	v_add3_u32 v4, v29, v4, 0x80fffff
	v_lshrrev_b32_e32 v4, 21, v4
; %bb.809:
	s_andn2_saveexec_b32 s10, s10
; %bb.810:
	v_add_f32_e64 v4, 0x43000000, |v29|
; %bb.811:
	s_or_b32 exec_lo, exec_lo, s10
                                        ; implicit-def: $vgpr5
.LBB21_812:
	s_andn2_saveexec_b32 s9, s9
; %bb.813:
	v_mov_b32_e32 v4, 0x7f
	v_cmp_lt_u32_e32 vcc_lo, 0x7f800000, v5
	v_cndmask_b32_e32 v4, 0x7c, v4, vcc_lo
; %bb.814:
	s_or_b32 exec_lo, exec_lo, s9
	v_lshrrev_b32_e32 v5, 24, v29
	v_and_or_b32 v4, 0x80, v5, v4
	global_store_byte v[1:2], v4, off
.LBB21_815:
	s_mov_b32 s9, 0
	s_mov_b32 s10, -1
.LBB21_816:
	s_andn2_b32 vcc_lo, exec_lo, s9
	s_mov_b32 s9, 0
	s_cbranch_vccnz .LBB21_823
; %bb.817:
	s_cmp_gt_i32 s8, 14
	s_mov_b32 s9, -1
	s_cbranch_scc0 .LBB21_821
; %bb.818:
	s_cmp_eq_u32 s8, 15
	s_mov_b32 s4, -1
	s_cbranch_scc0 .LBB21_820
; %bb.819:
	v_bfe_u32 v4, v29, 16, 1
	v_cmp_o_f32_e32 vcc_lo, v29, v29
	v_mov_b32_e32 v5, 0x7fc0
	s_mov_b32 s4, 0
	s_mov_b32 s10, -1
	v_add3_u32 v4, v29, v4, 0x7fff
	v_cndmask_b32_sdwa v4, v5, v4, vcc_lo dst_sel:DWORD dst_unused:UNUSED_PAD src0_sel:DWORD src1_sel:WORD_1
	global_store_short v[1:2], v4, off
.LBB21_820:
	s_mov_b32 s9, 0
.LBB21_821:
	s_and_b32 vcc_lo, exec_lo, s9
	s_mov_b32 s9, 0
	s_cbranch_vccz .LBB21_823
; %bb.822:
	s_cmp_lg_u32 s8, 11
	s_mov_b32 s9, -1
	s_cselect_b32 s4, -1, 0
.LBB21_823:
	s_and_b32 vcc_lo, exec_lo, s4
	s_cbranch_vccnz .LBB21_1001
; %bb.824:
	s_andn2_b32 vcc_lo, exec_lo, s9
	s_cbranch_vccnz .LBB21_826
.LBB21_825:
	v_cmp_neq_f32_e32 vcc_lo, 0, v29
	s_mov_b32 s10, -1
	v_cndmask_b32_e64 v4, 0, 1, vcc_lo
	global_store_byte v[1:2], v4, off
.LBB21_826:
.LBB21_827:
	s_andn2_b32 vcc_lo, exec_lo, s10
	s_cbranch_vccnz .LBB21_943
.LBB21_828:
	v_add_nc_u32_e32 v1, s7, v3
	s_cmp_lt_i32 s5, 11
	v_ashrrev_i32_e32 v3, 31, v1
	v_add_co_u32 v2, vcc_lo, s16, v1
	v_add_co_ci_u32_e64 v3, null, s17, v3, vcc_lo
	s_cbranch_scc1 .LBB21_988
; %bb.829:
	s_and_b32 s7, 0xffff, s5
	s_mov_b32 s9, -1
	s_mov_b32 s8, 0
	s_cmp_gt_i32 s7, 25
	s_mov_b32 s4, 0
	s_cbranch_scc0 .LBB21_862
; %bb.830:
	s_cmp_gt_i32 s7, 28
	s_cbranch_scc0 .LBB21_846
; %bb.831:
	s_cmp_gt_i32 s7, 43
	;; [unrolled: 3-line block ×3, first 2 shown]
	s_cbranch_scc0 .LBB21_836
; %bb.833:
	s_cmp_eq_u32 s7, 46
	s_mov_b32 s4, -1
	s_cbranch_scc0 .LBB21_835
; %bb.834:
	v_bfe_u32 v1, v0, 16, 1
	v_cmp_o_f32_e32 vcc_lo, v0, v0
	v_mov_b32_e32 v4, 0x7fc0
	s_mov_b32 s4, 0
	v_add3_u32 v1, v0, v1, 0x7fff
	v_cndmask_b32_sdwa v1, v4, v1, vcc_lo dst_sel:DWORD dst_unused:UNUSED_PAD src0_sel:DWORD src1_sel:WORD_1
	global_store_dword v[2:3], v1, off
.LBB21_835:
	s_mov_b32 s9, 0
.LBB21_836:
	s_and_b32 vcc_lo, exec_lo, s9
	s_cbranch_vccz .LBB21_841
; %bb.837:
	s_cmp_eq_u32 s7, 44
	s_mov_b32 s4, -1
	s_cbranch_scc0 .LBB21_841
; %bb.838:
	v_bfe_u32 v4, v0, 23, 8
	v_mov_b32_e32 v1, 0xff
	s_mov_b32 s9, exec_lo
	v_cmpx_ne_u32_e32 0xff, v4
	s_cbranch_execz .LBB21_840
; %bb.839:
	v_and_b32_e32 v1, 0x400000, v0
	v_and_or_b32 v4, 0x3fffff, v0, v4
	v_cmp_ne_u32_e32 vcc_lo, 0, v1
	v_cmp_ne_u32_e64 s4, 0, v4
	v_lshrrev_b32_e32 v1, 23, v0
	s_and_b32 s4, vcc_lo, s4
	v_cndmask_b32_e64 v4, 0, 1, s4
	v_add_nc_u32_e32 v1, v1, v4
.LBB21_840:
	s_or_b32 exec_lo, exec_lo, s9
	s_mov_b32 s4, 0
	global_store_byte v[2:3], v1, off
.LBB21_841:
	s_mov_b32 s9, 0
.LBB21_842:
	s_and_b32 vcc_lo, exec_lo, s9
	s_cbranch_vccz .LBB21_845
; %bb.843:
	s_cmp_eq_u32 s7, 29
	s_mov_b32 s4, -1
	s_cbranch_scc0 .LBB21_845
; %bb.844:
	v_trunc_f32_e32 v1, v0
	s_mov_b32 s4, 0
	v_mul_f32_e32 v4, 0x2f800000, v1
	v_floor_f32_e32 v4, v4
	v_fmamk_f32 v1, v4, 0xcf800000, v1
	v_cvt_u32_f32_e32 v5, v4
	v_cvt_u32_f32_e32 v4, v1
	global_store_dwordx2 v[2:3], v[4:5], off
.LBB21_845:
	s_mov_b32 s9, 0
.LBB21_846:
	s_and_b32 vcc_lo, exec_lo, s9
	s_cbranch_vccz .LBB21_861
; %bb.847:
	s_cmp_lt_i32 s7, 27
	s_mov_b32 s9, -1
	s_cbranch_scc1 .LBB21_853
; %bb.848:
	v_cvt_u32_f32_e32 v1, v0
	s_cmp_gt_i32 s7, 27
	s_cbranch_scc0 .LBB21_850
; %bb.849:
	s_mov_b32 s9, 0
	global_store_dword v[2:3], v1, off
.LBB21_850:
	s_andn2_b32 vcc_lo, exec_lo, s9
	s_cbranch_vccnz .LBB21_852
; %bb.851:
	global_store_short v[2:3], v1, off
.LBB21_852:
	s_mov_b32 s9, 0
.LBB21_853:
	s_andn2_b32 vcc_lo, exec_lo, s9
	s_cbranch_vccnz .LBB21_861
; %bb.854:
	v_and_b32_e32 v1, 0x7fffffff, v0
	v_mov_b32_e32 v4, 0x80
	s_mov_b32 s9, exec_lo
	v_cmpx_gt_u32_e32 0x43800000, v1
	s_cbranch_execz .LBB21_860
; %bb.855:
	v_cmp_lt_u32_e32 vcc_lo, 0x3bffffff, v1
	s_mov_b32 s10, 0
                                        ; implicit-def: $vgpr1
	s_and_saveexec_b32 s11, vcc_lo
	s_xor_b32 s11, exec_lo, s11
	s_cbranch_execz .LBB21_1004
; %bb.856:
	v_bfe_u32 v1, v0, 20, 1
	s_mov_b32 s10, exec_lo
	v_add3_u32 v1, v0, v1, 0x487ffff
	v_lshrrev_b32_e32 v1, 20, v1
	s_andn2_saveexec_b32 s11, s11
	s_cbranch_execnz .LBB21_1005
.LBB21_857:
	s_or_b32 exec_lo, exec_lo, s11
	v_mov_b32_e32 v4, 0
	s_and_saveexec_b32 s11, s10
.LBB21_858:
	v_lshrrev_b32_e32 v4, 24, v0
	v_and_or_b32 v4, 0x80, v4, v1
.LBB21_859:
	s_or_b32 exec_lo, exec_lo, s11
.LBB21_860:
	s_or_b32 exec_lo, exec_lo, s9
	global_store_byte v[2:3], v4, off
.LBB21_861:
	s_mov_b32 s9, 0
.LBB21_862:
	s_and_b32 vcc_lo, exec_lo, s9
	s_cbranch_vccz .LBB21_902
; %bb.863:
	s_cmp_gt_i32 s7, 22
	s_mov_b32 s8, -1
	s_cbranch_scc0 .LBB21_895
; %bb.864:
	s_cmp_lt_i32 s7, 24
	s_cbranch_scc1 .LBB21_884
; %bb.865:
	s_cmp_gt_i32 s7, 24
	s_cbranch_scc0 .LBB21_873
; %bb.866:
	v_and_b32_e32 v1, 0x7fffffff, v0
	v_mov_b32_e32 v4, 0x80
	s_mov_b32 s8, exec_lo
	v_cmpx_gt_u32_e32 0x47800000, v1
	s_cbranch_execz .LBB21_872
; %bb.867:
	v_cmp_lt_u32_e32 vcc_lo, 0x37ffffff, v1
	s_mov_b32 s9, 0
                                        ; implicit-def: $vgpr1
	s_and_saveexec_b32 s10, vcc_lo
	s_xor_b32 s10, exec_lo, s10
	s_cbranch_execz .LBB21_1009
; %bb.868:
	v_bfe_u32 v1, v0, 21, 1
	s_mov_b32 s9, exec_lo
	v_add3_u32 v1, v0, v1, 0x88fffff
	v_lshrrev_b32_e32 v1, 21, v1
	s_andn2_saveexec_b32 s10, s10
	s_cbranch_execnz .LBB21_1010
.LBB21_869:
	s_or_b32 exec_lo, exec_lo, s10
	v_mov_b32_e32 v4, 0
	s_and_saveexec_b32 s10, s9
.LBB21_870:
	v_lshrrev_b32_e32 v4, 24, v0
	v_and_or_b32 v4, 0x80, v4, v1
.LBB21_871:
	s_or_b32 exec_lo, exec_lo, s10
.LBB21_872:
	s_or_b32 exec_lo, exec_lo, s8
	s_mov_b32 s8, 0
	global_store_byte v[2:3], v4, off
.LBB21_873:
	s_and_b32 vcc_lo, exec_lo, s8
	s_cbranch_vccz .LBB21_883
; %bb.874:
	v_and_b32_e32 v4, 0x7fffffff, v0
	s_mov_b32 s8, exec_lo
                                        ; implicit-def: $vgpr1
	v_cmpx_gt_u32_e32 0x43f00000, v4
	s_xor_b32 s8, exec_lo, s8
	s_cbranch_execz .LBB21_880
; %bb.875:
	s_mov_b32 s9, exec_lo
                                        ; implicit-def: $vgpr1
	v_cmpx_lt_u32_e32 0x3c7fffff, v4
	s_xor_b32 s9, exec_lo, s9
; %bb.876:
	v_bfe_u32 v1, v0, 20, 1
	v_add3_u32 v1, v0, v1, 0x407ffff
	v_and_b32_e32 v4, 0xff00000, v1
	v_lshrrev_b32_e32 v1, 20, v1
	v_cmp_ne_u32_e32 vcc_lo, 0x7f00000, v4
	v_cndmask_b32_e32 v1, 0x7e, v1, vcc_lo
; %bb.877:
	s_andn2_saveexec_b32 s9, s9
; %bb.878:
	v_add_f32_e64 v1, 0x46800000, |v0|
; %bb.879:
	s_or_b32 exec_lo, exec_lo, s9
                                        ; implicit-def: $vgpr4
.LBB21_880:
	s_andn2_saveexec_b32 s8, s8
; %bb.881:
	v_mov_b32_e32 v1, 0x7f
	v_cmp_lt_u32_e32 vcc_lo, 0x7f800000, v4
	v_cndmask_b32_e32 v1, 0x7e, v1, vcc_lo
; %bb.882:
	s_or_b32 exec_lo, exec_lo, s8
	v_lshrrev_b32_e32 v4, 24, v0
	v_and_or_b32 v1, 0x80, v4, v1
	global_store_byte v[2:3], v1, off
.LBB21_883:
	s_mov_b32 s8, 0
.LBB21_884:
	s_andn2_b32 vcc_lo, exec_lo, s8
	s_cbranch_vccnz .LBB21_894
; %bb.885:
	v_and_b32_e32 v4, 0x7fffffff, v0
	s_mov_b32 s8, exec_lo
                                        ; implicit-def: $vgpr1
	v_cmpx_gt_u32_e32 0x47800000, v4
	s_xor_b32 s8, exec_lo, s8
	s_cbranch_execz .LBB21_891
; %bb.886:
	s_mov_b32 s9, exec_lo
                                        ; implicit-def: $vgpr1
	v_cmpx_lt_u32_e32 0x387fffff, v4
	s_xor_b32 s9, exec_lo, s9
; %bb.887:
	v_bfe_u32 v1, v0, 21, 1
	v_add3_u32 v1, v0, v1, 0x80fffff
	v_lshrrev_b32_e32 v1, 21, v1
; %bb.888:
	s_andn2_saveexec_b32 s9, s9
; %bb.889:
	v_add_f32_e64 v1, 0x43000000, |v0|
; %bb.890:
	s_or_b32 exec_lo, exec_lo, s9
                                        ; implicit-def: $vgpr4
.LBB21_891:
	s_andn2_saveexec_b32 s8, s8
; %bb.892:
	v_mov_b32_e32 v1, 0x7f
	v_cmp_lt_u32_e32 vcc_lo, 0x7f800000, v4
	v_cndmask_b32_e32 v1, 0x7c, v1, vcc_lo
; %bb.893:
	s_or_b32 exec_lo, exec_lo, s8
	v_lshrrev_b32_e32 v4, 24, v0
	v_and_or_b32 v1, 0x80, v4, v1
	global_store_byte v[2:3], v1, off
.LBB21_894:
	s_mov_b32 s8, 0
.LBB21_895:
	s_andn2_b32 vcc_lo, exec_lo, s8
	s_mov_b32 s8, 0
	s_cbranch_vccnz .LBB21_902
; %bb.896:
	s_cmp_gt_i32 s7, 14
	s_mov_b32 s8, -1
	s_cbranch_scc0 .LBB21_900
; %bb.897:
	s_cmp_eq_u32 s7, 15
	s_mov_b32 s4, -1
	s_cbranch_scc0 .LBB21_899
; %bb.898:
	v_bfe_u32 v1, v0, 16, 1
	v_cmp_o_f32_e32 vcc_lo, v0, v0
	v_mov_b32_e32 v4, 0x7fc0
	s_mov_b32 s4, 0
	v_add3_u32 v1, v0, v1, 0x7fff
	v_cndmask_b32_sdwa v1, v4, v1, vcc_lo dst_sel:DWORD dst_unused:UNUSED_PAD src0_sel:DWORD src1_sel:WORD_1
	global_store_short v[2:3], v1, off
.LBB21_899:
	s_mov_b32 s8, 0
.LBB21_900:
	s_and_b32 vcc_lo, exec_lo, s8
	s_mov_b32 s8, 0
	s_cbranch_vccz .LBB21_902
; %bb.901:
	s_cmp_lg_u32 s7, 11
	s_mov_b32 s8, -1
	s_cselect_b32 s4, -1, 0
.LBB21_902:
	s_and_b32 vcc_lo, exec_lo, s4
	s_cbranch_vccnz .LBB21_1006
.LBB21_903:
	s_mov_b32 s4, 0
	s_branch .LBB21_944
.LBB21_904:
	s_mov_b32 s10, 0
	s_cbranch_execz .LBB21_827
; %bb.905:
	s_and_b32 s4, 0xffff, s5
	s_mov_b32 s8, -1
	s_cmp_lt_i32 s4, 5
	s_cbranch_scc1 .LBB21_926
; %bb.906:
	s_cmp_lt_i32 s4, 8
	s_cbranch_scc1 .LBB21_916
; %bb.907:
	s_cmp_lt_i32 s4, 9
	s_cbranch_scc1 .LBB21_913
; %bb.908:
	s_cmp_gt_i32 s4, 9
	s_cbranch_scc0 .LBB21_910
; %bb.909:
	v_cvt_f64_f32_e32 v[4:5], v29
	v_mov_b32_e32 v6, 0
	s_mov_b32 s8, 0
	v_mov_b32_e32 v7, v6
	global_store_dwordx4 v[1:2], v[4:7], off
.LBB21_910:
	s_andn2_b32 vcc_lo, exec_lo, s8
	s_cbranch_vccnz .LBB21_912
; %bb.911:
	v_mov_b32_e32 v30, 0
	global_store_dwordx2 v[1:2], v[29:30], off
.LBB21_912:
	s_mov_b32 s8, 0
.LBB21_913:
	s_andn2_b32 vcc_lo, exec_lo, s8
	s_cbranch_vccnz .LBB21_915
; %bb.914:
	v_cvt_f16_f32_e32 v4, v29
	v_and_b32_e32 v4, 0xffff, v4
	global_store_dword v[1:2], v4, off
.LBB21_915:
	s_mov_b32 s8, 0
.LBB21_916:
	s_andn2_b32 vcc_lo, exec_lo, s8
	s_cbranch_vccnz .LBB21_925
; %bb.917:
	s_cmp_lt_i32 s4, 6
	s_mov_b32 s8, -1
	s_cbranch_scc1 .LBB21_923
; %bb.918:
	s_cmp_gt_i32 s4, 6
	s_cbranch_scc0 .LBB21_920
; %bb.919:
	v_cvt_f64_f32_e32 v[4:5], v29
	s_mov_b32 s8, 0
	global_store_dwordx2 v[1:2], v[4:5], off
.LBB21_920:
	s_andn2_b32 vcc_lo, exec_lo, s8
	s_cbranch_vccnz .LBB21_922
; %bb.921:
	global_store_dword v[1:2], v29, off
.LBB21_922:
	s_mov_b32 s8, 0
.LBB21_923:
	s_andn2_b32 vcc_lo, exec_lo, s8
	s_cbranch_vccnz .LBB21_925
; %bb.924:
	v_cvt_f16_f32_e32 v4, v29
	global_store_short v[1:2], v4, off
.LBB21_925:
	s_mov_b32 s8, 0
.LBB21_926:
	s_andn2_b32 vcc_lo, exec_lo, s8
	s_cbranch_vccnz .LBB21_942
; %bb.927:
	s_cmp_lt_i32 s4, 2
	s_mov_b32 s8, -1
	s_cbranch_scc1 .LBB21_937
; %bb.928:
	s_cmp_lt_i32 s4, 3
	s_cbranch_scc1 .LBB21_934
; %bb.929:
	s_cmp_gt_i32 s4, 3
	s_cbranch_scc0 .LBB21_931
; %bb.930:
	v_trunc_f32_e32 v4, v29
	s_mov_b32 s8, 0
	v_mul_f32_e64 v5, 0x2f800000, |v4|
	v_ashrrev_i32_e32 v7, 31, v4
	v_floor_f32_e32 v5, v5
	v_fma_f32 v6, 0xcf800000, v5, |v4|
	v_cvt_u32_f32_e32 v5, v5
	v_cvt_u32_f32_e32 v4, v6
	v_xor_b32_e32 v5, v5, v7
	v_xor_b32_e32 v4, v4, v7
	v_sub_co_u32 v4, vcc_lo, v4, v7
	v_sub_co_ci_u32_e64 v5, null, v5, v7, vcc_lo
	global_store_dwordx2 v[1:2], v[4:5], off
.LBB21_931:
	s_andn2_b32 vcc_lo, exec_lo, s8
	s_cbranch_vccnz .LBB21_933
; %bb.932:
	v_cvt_i32_f32_e32 v4, v29
	global_store_dword v[1:2], v4, off
.LBB21_933:
	s_mov_b32 s8, 0
.LBB21_934:
	s_andn2_b32 vcc_lo, exec_lo, s8
	s_cbranch_vccnz .LBB21_936
; %bb.935:
	v_cvt_i32_f32_e32 v4, v29
	global_store_short v[1:2], v4, off
.LBB21_936:
	s_mov_b32 s8, 0
.LBB21_937:
	s_andn2_b32 vcc_lo, exec_lo, s8
	s_cbranch_vccnz .LBB21_942
; %bb.938:
	s_cmp_gt_i32 s4, 0
	s_mov_b32 s4, -1
	s_cbranch_scc0 .LBB21_940
; %bb.939:
	v_cvt_i32_f32_e32 v4, v29
	s_mov_b32 s4, 0
	global_store_byte v[1:2], v4, off
.LBB21_940:
	s_andn2_b32 vcc_lo, exec_lo, s4
	s_cbranch_vccnz .LBB21_942
; %bb.941:
	v_trunc_f32_e32 v4, v29
	v_mul_f32_e64 v5, 0x2f800000, |v4|
	v_floor_f32_e32 v5, v5
	v_fma_f32 v5, 0xcf800000, v5, |v4|
	v_ashrrev_i32_e32 v4, 31, v4
	v_cvt_u32_f32_e32 v5, v5
	v_xor_b32_e32 v5, v5, v4
	v_sub_nc_u32_e32 v4, v5, v4
	global_store_byte v[1:2], v4, off
.LBB21_942:
	s_branch .LBB21_828
.LBB21_943:
	s_mov_b32 s4, 0
	s_mov_b32 s8, 0
                                        ; implicit-def: $sgpr5
                                        ; implicit-def: $vgpr2_vgpr3
.LBB21_944:
	s_andn2_b32 s7, s25, exec_lo
	s_and_b32 s6, s6, exec_lo
	s_and_b32 s4, s4, exec_lo
	;; [unrolled: 1-line block ×3, first 2 shown]
	s_or_b32 s25, s7, s6
.LBB21_945:
	s_or_b32 exec_lo, exec_lo, s24
	s_and_saveexec_b32 s6, s25
	s_cbranch_execz .LBB21_948
; %bb.946:
	; divergent unreachable
	s_or_b32 exec_lo, exec_lo, s6
	s_and_saveexec_b32 s6, s23
	s_xor_b32 s6, exec_lo, s6
	s_cbranch_execnz .LBB21_949
.LBB21_947:
	s_or_b32 exec_lo, exec_lo, s6
	s_and_saveexec_b32 s6, s4
	s_cbranch_execnz .LBB21_950
	s_branch .LBB21_987
.LBB21_948:
	s_or_b32 exec_lo, exec_lo, s6
	s_and_saveexec_b32 s6, s23
	s_xor_b32 s6, exec_lo, s6
	s_cbranch_execz .LBB21_947
.LBB21_949:
	v_cmp_neq_f32_e32 vcc_lo, 0, v0
	v_cndmask_b32_e64 v1, 0, 1, vcc_lo
	global_store_byte v[2:3], v1, off
	s_or_b32 exec_lo, exec_lo, s6
	s_and_saveexec_b32 s6, s4
	s_cbranch_execz .LBB21_987
.LBB21_950:
	s_sext_i32_i16 s6, s5
	s_mov_b32 s4, -1
	s_cmp_lt_i32 s6, 5
	s_cbranch_scc1 .LBB21_971
; %bb.951:
	s_cmp_lt_i32 s6, 8
	s_cbranch_scc1 .LBB21_961
; %bb.952:
	;; [unrolled: 3-line block ×3, first 2 shown]
	s_cmp_gt_i32 s6, 9
	s_cbranch_scc0 .LBB21_955
; %bb.954:
	v_cvt_f64_f32_e32 v[4:5], v0
	v_mov_b32_e32 v6, 0
	s_mov_b32 s4, 0
	v_mov_b32_e32 v7, v6
	global_store_dwordx4 v[2:3], v[4:7], off
.LBB21_955:
	s_andn2_b32 vcc_lo, exec_lo, s4
	s_cbranch_vccnz .LBB21_957
; %bb.956:
	v_mov_b32_e32 v1, 0
	global_store_dwordx2 v[2:3], v[0:1], off
.LBB21_957:
	s_mov_b32 s4, 0
.LBB21_958:
	s_andn2_b32 vcc_lo, exec_lo, s4
	s_cbranch_vccnz .LBB21_960
; %bb.959:
	v_cvt_f16_f32_e32 v1, v0
	v_and_b32_e32 v1, 0xffff, v1
	global_store_dword v[2:3], v1, off
.LBB21_960:
	s_mov_b32 s4, 0
.LBB21_961:
	s_andn2_b32 vcc_lo, exec_lo, s4
	s_cbranch_vccnz .LBB21_970
; %bb.962:
	s_sext_i32_i16 s6, s5
	s_mov_b32 s4, -1
	s_cmp_lt_i32 s6, 6
	s_cbranch_scc1 .LBB21_968
; %bb.963:
	s_cmp_gt_i32 s6, 6
	s_cbranch_scc0 .LBB21_965
; %bb.964:
	v_cvt_f64_f32_e32 v[4:5], v0
	s_mov_b32 s4, 0
	global_store_dwordx2 v[2:3], v[4:5], off
.LBB21_965:
	s_andn2_b32 vcc_lo, exec_lo, s4
	s_cbranch_vccnz .LBB21_967
; %bb.966:
	global_store_dword v[2:3], v0, off
.LBB21_967:
	s_mov_b32 s4, 0
.LBB21_968:
	s_andn2_b32 vcc_lo, exec_lo, s4
	s_cbranch_vccnz .LBB21_970
; %bb.969:
	v_cvt_f16_f32_e32 v1, v0
	global_store_short v[2:3], v1, off
.LBB21_970:
	s_mov_b32 s4, 0
.LBB21_971:
	s_andn2_b32 vcc_lo, exec_lo, s4
	s_cbranch_vccnz .LBB21_987
; %bb.972:
	s_sext_i32_i16 s6, s5
	s_mov_b32 s4, -1
	s_cmp_lt_i32 s6, 2
	s_cbranch_scc1 .LBB21_982
; %bb.973:
	s_cmp_lt_i32 s6, 3
	s_cbranch_scc1 .LBB21_979
; %bb.974:
	s_cmp_gt_i32 s6, 3
	s_cbranch_scc0 .LBB21_976
; %bb.975:
	v_trunc_f32_e32 v1, v0
	s_mov_b32 s4, 0
	v_mul_f32_e64 v4, 0x2f800000, |v1|
	v_floor_f32_e32 v4, v4
	v_fma_f32 v5, 0xcf800000, v4, |v1|
	v_ashrrev_i32_e32 v1, 31, v1
	v_cvt_u32_f32_e32 v4, v4
	v_cvt_u32_f32_e32 v5, v5
	v_xor_b32_e32 v6, v4, v1
	v_xor_b32_e32 v5, v5, v1
	v_sub_co_u32 v4, vcc_lo, v5, v1
	v_sub_co_ci_u32_e64 v5, null, v6, v1, vcc_lo
	global_store_dwordx2 v[2:3], v[4:5], off
.LBB21_976:
	s_andn2_b32 vcc_lo, exec_lo, s4
	s_cbranch_vccnz .LBB21_978
; %bb.977:
	v_cvt_i32_f32_e32 v1, v0
	global_store_dword v[2:3], v1, off
.LBB21_978:
	s_mov_b32 s4, 0
.LBB21_979:
	s_andn2_b32 vcc_lo, exec_lo, s4
	s_cbranch_vccnz .LBB21_981
; %bb.980:
	v_cvt_i32_f32_e32 v1, v0
	global_store_short v[2:3], v1, off
.LBB21_981:
	s_mov_b32 s4, 0
.LBB21_982:
	s_andn2_b32 vcc_lo, exec_lo, s4
	s_cbranch_vccnz .LBB21_987
; %bb.983:
	s_sext_i32_i16 s4, s5
	s_cmp_gt_i32 s4, 0
	s_mov_b32 s4, -1
	s_cbranch_scc0 .LBB21_985
; %bb.984:
	v_cvt_i32_f32_e32 v1, v0
	s_mov_b32 s4, 0
	global_store_byte v[2:3], v1, off
.LBB21_985:
	s_andn2_b32 vcc_lo, exec_lo, s4
	s_cbranch_vccnz .LBB21_987
; %bb.986:
	v_trunc_f32_e32 v0, v0
	v_mul_f32_e64 v1, 0x2f800000, |v0|
	v_floor_f32_e32 v1, v1
	v_fma_f32 v1, 0xcf800000, v1, |v0|
	v_ashrrev_i32_e32 v0, 31, v0
	v_cvt_u32_f32_e32 v1, v1
	v_xor_b32_e32 v1, v1, v0
	v_sub_nc_u32_e32 v0, v1, v0
	global_store_byte v[2:3], v0, off
	s_endpgm
.LBB21_987:
	s_endpgm
.LBB21_988:
	s_mov_b32 s8, 0
	s_mov_b32 s4, -1
	s_branch .LBB21_944
.LBB21_989:
	s_andn2_saveexec_b32 s10, s10
	s_cbranch_execz .LBB21_541
.LBB21_990:
	v_add_f32_e64 v4, 0x46000000, |v31|
	s_andn2_b32 s9, s9, exec_lo
	v_and_b32_e32 v4, 0xff, v4
	v_cmp_ne_u32_e32 vcc_lo, 0, v4
	s_and_b32 s11, vcc_lo, exec_lo
	s_or_b32 s9, s9, s11
	s_or_b32 exec_lo, exec_lo, s10
	v_mov_b32_e32 v5, 0
	s_and_saveexec_b32 s10, s9
	s_cbranch_execnz .LBB21_542
	s_branch .LBB21_543
.LBB21_991:
	s_or_b32 s6, s25, exec_lo
	s_trap 2
	s_cbranch_execz .LBB21_589
	s_branch .LBB21_590
.LBB21_992:
	s_andn2_saveexec_b32 s9, s9
	s_cbranch_execz .LBB21_554
.LBB21_993:
	v_add_f32_e64 v4, 0x42800000, |v31|
	s_andn2_b32 s8, s8, exec_lo
	v_and_b32_e32 v4, 0xff, v4
	v_cmp_ne_u32_e32 vcc_lo, 0, v4
	s_and_b32 s10, vcc_lo, exec_lo
	s_or_b32 s8, s8, s10
	s_or_b32 exec_lo, exec_lo, s9
	v_mov_b32_e32 v5, 0
	s_and_saveexec_b32 s9, s8
	s_cbranch_execnz .LBB21_555
	s_branch .LBB21_556
.LBB21_994:
	s_andn2_saveexec_b32 s12, s12
	s_cbranch_execz .LBB21_659
.LBB21_995:
	v_add_f32_e64 v4, 0x46000000, |v30|
	s_andn2_b32 s11, s11, exec_lo
	v_and_b32_e32 v4, 0xff, v4
	v_cmp_ne_u32_e32 vcc_lo, 0, v4
	s_and_b32 s13, vcc_lo, exec_lo
	s_or_b32 s11, s11, s13
	s_or_b32 exec_lo, exec_lo, s12
	v_mov_b32_e32 v5, 0
	s_and_saveexec_b32 s12, s11
	s_cbranch_execnz .LBB21_660
	s_branch .LBB21_661
.LBB21_996:
	s_or_b32 s6, s6, exec_lo
	s_trap 2
	s_cbranch_execz .LBB21_707
	s_branch .LBB21_708
.LBB21_997:
	s_andn2_saveexec_b32 s11, s11
	s_cbranch_execz .LBB21_672
.LBB21_998:
	v_add_f32_e64 v4, 0x42800000, |v30|
	s_andn2_b32 s10, s10, exec_lo
	v_and_b32_e32 v4, 0xff, v4
	v_cmp_ne_u32_e32 vcc_lo, 0, v4
	s_and_b32 s12, vcc_lo, exec_lo
	s_or_b32 s10, s10, s12
	s_or_b32 exec_lo, exec_lo, s11
	v_mov_b32_e32 v5, 0
	s_and_saveexec_b32 s11, s10
	s_cbranch_execnz .LBB21_673
	s_branch .LBB21_674
.LBB21_999:
	s_andn2_saveexec_b32 s12, s12
	s_cbranch_execz .LBB21_777
.LBB21_1000:
	v_add_f32_e64 v4, 0x46000000, |v29|
	s_andn2_b32 s11, s11, exec_lo
	v_and_b32_e32 v4, 0xff, v4
	v_cmp_ne_u32_e32 vcc_lo, 0, v4
	s_and_b32 s13, vcc_lo, exec_lo
	s_or_b32 s11, s11, s13
	s_or_b32 exec_lo, exec_lo, s12
	v_mov_b32_e32 v5, 0
	s_and_saveexec_b32 s12, s11
	s_cbranch_execnz .LBB21_778
	s_branch .LBB21_779
.LBB21_1001:
	s_or_b32 s6, s6, exec_lo
	s_trap 2
	s_cbranch_execz .LBB21_825
	s_branch .LBB21_826
.LBB21_1002:
	s_andn2_saveexec_b32 s11, s11
	s_cbranch_execz .LBB21_790
.LBB21_1003:
	v_add_f32_e64 v4, 0x42800000, |v29|
	s_andn2_b32 s10, s10, exec_lo
	v_and_b32_e32 v4, 0xff, v4
	v_cmp_ne_u32_e32 vcc_lo, 0, v4
	s_and_b32 s12, vcc_lo, exec_lo
	s_or_b32 s10, s10, s12
	s_or_b32 exec_lo, exec_lo, s11
	v_mov_b32_e32 v5, 0
	s_and_saveexec_b32 s11, s10
	s_cbranch_execnz .LBB21_791
	s_branch .LBB21_792
.LBB21_1004:
	s_andn2_saveexec_b32 s11, s11
	s_cbranch_execz .LBB21_857
.LBB21_1005:
	v_add_f32_e64 v1, 0x46000000, |v0|
	s_andn2_b32 s10, s10, exec_lo
	v_and_b32_e32 v1, 0xff, v1
	v_cmp_ne_u32_e32 vcc_lo, 0, v1
	s_and_b32 s12, vcc_lo, exec_lo
	s_or_b32 s10, s10, s12
	s_or_b32 exec_lo, exec_lo, s11
	v_mov_b32_e32 v4, 0
	s_and_saveexec_b32 s11, s10
	s_cbranch_execnz .LBB21_858
	s_branch .LBB21_859
.LBB21_1006:
	s_mov_b32 s8, 0
	s_or_b32 s6, s6, exec_lo
	s_trap 2
	s_branch .LBB21_903
.LBB21_1007:
	s_andn2_saveexec_b32 s9, s9
	s_cbranch_execz .LBB21_422
.LBB21_1008:
	v_add_f32_e64 v1, 0x46000000, |v0|
	s_andn2_b32 s8, s8, exec_lo
	v_and_b32_e32 v1, 0xff, v1
	v_cmp_ne_u32_e32 vcc_lo, 0, v1
	s_and_b32 s10, vcc_lo, exec_lo
	s_or_b32 s8, s8, s10
	s_or_b32 exec_lo, exec_lo, s9
	v_mov_b32_e32 v4, 0
	s_and_saveexec_b32 s9, s8
	s_cbranch_execnz .LBB21_423
	s_branch .LBB21_424
.LBB21_1009:
	s_andn2_saveexec_b32 s10, s10
	s_cbranch_execz .LBB21_869
.LBB21_1010:
	v_add_f32_e64 v1, 0x42800000, |v0|
	s_andn2_b32 s9, s9, exec_lo
	v_and_b32_e32 v1, 0xff, v1
	v_cmp_ne_u32_e32 vcc_lo, 0, v1
	s_and_b32 s11, vcc_lo, exec_lo
	s_or_b32 s9, s9, s11
	s_or_b32 exec_lo, exec_lo, s10
	v_mov_b32_e32 v4, 0
	s_and_saveexec_b32 s10, s9
	s_cbranch_execnz .LBB21_870
	s_branch .LBB21_871
.LBB21_1011:
	s_andn2_saveexec_b32 s10, s10
	s_cbranch_execz .LBB21_434
.LBB21_1012:
	v_add_f32_e64 v1, 0x42800000, |v0|
	s_andn2_b32 s9, s9, exec_lo
	v_and_b32_e32 v1, 0xff, v1
	v_cmp_ne_u32_e32 vcc_lo, 0, v1
	s_and_b32 s11, vcc_lo, exec_lo
	s_or_b32 s9, s9, s11
	s_or_b32 exec_lo, exec_lo, s10
	v_mov_b32_e32 v4, 0
	s_and_saveexec_b32 s10, s9
	s_cbranch_execnz .LBB21_435
	s_branch .LBB21_436
	.section	.rodata,"a",@progbits
	.p2align	6, 0x0
	.amdhsa_kernel _ZN2at6native32elementwise_kernel_manual_unrollILi128ELi4EZNS0_15gpu_kernel_implIZZZNS0_12_GLOBAL__N_121bessel_y1_kernel_cudaERNS_18TensorIteratorBaseEENKUlvE_clEvENKUlvE0_clEvEUlfE_EEvS5_RKT_EUlibE_EEviT1_
		.amdhsa_group_segment_fixed_size 0
		.amdhsa_private_segment_fixed_size 0
		.amdhsa_kernarg_size 40
		.amdhsa_user_sgpr_count 6
		.amdhsa_user_sgpr_private_segment_buffer 1
		.amdhsa_user_sgpr_dispatch_ptr 0
		.amdhsa_user_sgpr_queue_ptr 0
		.amdhsa_user_sgpr_kernarg_segment_ptr 1
		.amdhsa_user_sgpr_dispatch_id 0
		.amdhsa_user_sgpr_flat_scratch_init 0
		.amdhsa_user_sgpr_private_segment_size 0
		.amdhsa_wavefront_size32 1
		.amdhsa_uses_dynamic_stack 0
		.amdhsa_system_sgpr_private_segment_wavefront_offset 0
		.amdhsa_system_sgpr_workgroup_id_x 1
		.amdhsa_system_sgpr_workgroup_id_y 0
		.amdhsa_system_sgpr_workgroup_id_z 0
		.amdhsa_system_sgpr_workgroup_info 0
		.amdhsa_system_vgpr_workitem_id 0
		.amdhsa_next_free_vgpr 36
		.amdhsa_next_free_sgpr 35
		.amdhsa_reserve_vcc 1
		.amdhsa_reserve_flat_scratch 0
		.amdhsa_float_round_mode_32 0
		.amdhsa_float_round_mode_16_64 0
		.amdhsa_float_denorm_mode_32 3
		.amdhsa_float_denorm_mode_16_64 3
		.amdhsa_dx10_clamp 1
		.amdhsa_ieee_mode 1
		.amdhsa_fp16_overflow 0
		.amdhsa_workgroup_processor_mode 1
		.amdhsa_memory_ordered 1
		.amdhsa_forward_progress 1
		.amdhsa_shared_vgpr_count 0
		.amdhsa_exception_fp_ieee_invalid_op 0
		.amdhsa_exception_fp_denorm_src 0
		.amdhsa_exception_fp_ieee_div_zero 0
		.amdhsa_exception_fp_ieee_overflow 0
		.amdhsa_exception_fp_ieee_underflow 0
		.amdhsa_exception_fp_ieee_inexact 0
		.amdhsa_exception_int_div_zero 0
	.end_amdhsa_kernel
	.section	.text._ZN2at6native32elementwise_kernel_manual_unrollILi128ELi4EZNS0_15gpu_kernel_implIZZZNS0_12_GLOBAL__N_121bessel_y1_kernel_cudaERNS_18TensorIteratorBaseEENKUlvE_clEvENKUlvE0_clEvEUlfE_EEvS5_RKT_EUlibE_EEviT1_,"axG",@progbits,_ZN2at6native32elementwise_kernel_manual_unrollILi128ELi4EZNS0_15gpu_kernel_implIZZZNS0_12_GLOBAL__N_121bessel_y1_kernel_cudaERNS_18TensorIteratorBaseEENKUlvE_clEvENKUlvE0_clEvEUlfE_EEvS5_RKT_EUlibE_EEviT1_,comdat
.Lfunc_end21:
	.size	_ZN2at6native32elementwise_kernel_manual_unrollILi128ELi4EZNS0_15gpu_kernel_implIZZZNS0_12_GLOBAL__N_121bessel_y1_kernel_cudaERNS_18TensorIteratorBaseEENKUlvE_clEvENKUlvE0_clEvEUlfE_EEvS5_RKT_EUlibE_EEviT1_, .Lfunc_end21-_ZN2at6native32elementwise_kernel_manual_unrollILi128ELi4EZNS0_15gpu_kernel_implIZZZNS0_12_GLOBAL__N_121bessel_y1_kernel_cudaERNS_18TensorIteratorBaseEENKUlvE_clEvENKUlvE0_clEvEUlfE_EEvS5_RKT_EUlibE_EEviT1_
                                        ; -- End function
	.set _ZN2at6native32elementwise_kernel_manual_unrollILi128ELi4EZNS0_15gpu_kernel_implIZZZNS0_12_GLOBAL__N_121bessel_y1_kernel_cudaERNS_18TensorIteratorBaseEENKUlvE_clEvENKUlvE0_clEvEUlfE_EEvS5_RKT_EUlibE_EEviT1_.num_vgpr, max(36, .L_ZN2at6native6invokeIZZZNS0_12_GLOBAL__N_121bessel_y1_kernel_cudaERNS_18TensorIteratorBaseEENKUlvE_clEvENKUlvE0_clEvEUlfE_i15function_traitsIS7_EEENT1_11result_typeERKT_PrKPcPKT0_PKN3c1010ScalarTypeEi.num_vgpr)
	.set _ZN2at6native32elementwise_kernel_manual_unrollILi128ELi4EZNS0_15gpu_kernel_implIZZZNS0_12_GLOBAL__N_121bessel_y1_kernel_cudaERNS_18TensorIteratorBaseEENKUlvE_clEvENKUlvE0_clEvEUlfE_EEvS5_RKT_EUlibE_EEviT1_.num_agpr, max(0, .L_ZN2at6native6invokeIZZZNS0_12_GLOBAL__N_121bessel_y1_kernel_cudaERNS_18TensorIteratorBaseEENKUlvE_clEvENKUlvE0_clEvEUlfE_i15function_traitsIS7_EEENT1_11result_typeERKT_PrKPcPKT0_PKN3c1010ScalarTypeEi.num_agpr)
	.set _ZN2at6native32elementwise_kernel_manual_unrollILi128ELi4EZNS0_15gpu_kernel_implIZZZNS0_12_GLOBAL__N_121bessel_y1_kernel_cudaERNS_18TensorIteratorBaseEENKUlvE_clEvENKUlvE0_clEvEUlfE_EEvS5_RKT_EUlibE_EEviT1_.numbered_sgpr, max(35, .L_ZN2at6native6invokeIZZZNS0_12_GLOBAL__N_121bessel_y1_kernel_cudaERNS_18TensorIteratorBaseEENKUlvE_clEvENKUlvE0_clEvEUlfE_i15function_traitsIS7_EEENT1_11result_typeERKT_PrKPcPKT0_PKN3c1010ScalarTypeEi.numbered_sgpr)
	.set _ZN2at6native32elementwise_kernel_manual_unrollILi128ELi4EZNS0_15gpu_kernel_implIZZZNS0_12_GLOBAL__N_121bessel_y1_kernel_cudaERNS_18TensorIteratorBaseEENKUlvE_clEvENKUlvE0_clEvEUlfE_EEvS5_RKT_EUlibE_EEviT1_.num_named_barrier, max(0, .L_ZN2at6native6invokeIZZZNS0_12_GLOBAL__N_121bessel_y1_kernel_cudaERNS_18TensorIteratorBaseEENKUlvE_clEvENKUlvE0_clEvEUlfE_i15function_traitsIS7_EEENT1_11result_typeERKT_PrKPcPKT0_PKN3c1010ScalarTypeEi.num_named_barrier)
	.set _ZN2at6native32elementwise_kernel_manual_unrollILi128ELi4EZNS0_15gpu_kernel_implIZZZNS0_12_GLOBAL__N_121bessel_y1_kernel_cudaERNS_18TensorIteratorBaseEENKUlvE_clEvENKUlvE0_clEvEUlfE_EEvS5_RKT_EUlibE_EEviT1_.private_seg_size, 0+max(.L_ZN2at6native6invokeIZZZNS0_12_GLOBAL__N_121bessel_y1_kernel_cudaERNS_18TensorIteratorBaseEENKUlvE_clEvENKUlvE0_clEvEUlfE_i15function_traitsIS7_EEENT1_11result_typeERKT_PrKPcPKT0_PKN3c1010ScalarTypeEi.private_seg_size)
	.set _ZN2at6native32elementwise_kernel_manual_unrollILi128ELi4EZNS0_15gpu_kernel_implIZZZNS0_12_GLOBAL__N_121bessel_y1_kernel_cudaERNS_18TensorIteratorBaseEENKUlvE_clEvENKUlvE0_clEvEUlfE_EEvS5_RKT_EUlibE_EEviT1_.uses_vcc, or(1, .L_ZN2at6native6invokeIZZZNS0_12_GLOBAL__N_121bessel_y1_kernel_cudaERNS_18TensorIteratorBaseEENKUlvE_clEvENKUlvE0_clEvEUlfE_i15function_traitsIS7_EEENT1_11result_typeERKT_PrKPcPKT0_PKN3c1010ScalarTypeEi.uses_vcc)
	.set _ZN2at6native32elementwise_kernel_manual_unrollILi128ELi4EZNS0_15gpu_kernel_implIZZZNS0_12_GLOBAL__N_121bessel_y1_kernel_cudaERNS_18TensorIteratorBaseEENKUlvE_clEvENKUlvE0_clEvEUlfE_EEvS5_RKT_EUlibE_EEviT1_.uses_flat_scratch, or(0, .L_ZN2at6native6invokeIZZZNS0_12_GLOBAL__N_121bessel_y1_kernel_cudaERNS_18TensorIteratorBaseEENKUlvE_clEvENKUlvE0_clEvEUlfE_i15function_traitsIS7_EEENT1_11result_typeERKT_PrKPcPKT0_PKN3c1010ScalarTypeEi.uses_flat_scratch)
	.set _ZN2at6native32elementwise_kernel_manual_unrollILi128ELi4EZNS0_15gpu_kernel_implIZZZNS0_12_GLOBAL__N_121bessel_y1_kernel_cudaERNS_18TensorIteratorBaseEENKUlvE_clEvENKUlvE0_clEvEUlfE_EEvS5_RKT_EUlibE_EEviT1_.has_dyn_sized_stack, or(0, .L_ZN2at6native6invokeIZZZNS0_12_GLOBAL__N_121bessel_y1_kernel_cudaERNS_18TensorIteratorBaseEENKUlvE_clEvENKUlvE0_clEvEUlfE_i15function_traitsIS7_EEENT1_11result_typeERKT_PrKPcPKT0_PKN3c1010ScalarTypeEi.has_dyn_sized_stack)
	.set _ZN2at6native32elementwise_kernel_manual_unrollILi128ELi4EZNS0_15gpu_kernel_implIZZZNS0_12_GLOBAL__N_121bessel_y1_kernel_cudaERNS_18TensorIteratorBaseEENKUlvE_clEvENKUlvE0_clEvEUlfE_EEvS5_RKT_EUlibE_EEviT1_.has_recursion, or(0, .L_ZN2at6native6invokeIZZZNS0_12_GLOBAL__N_121bessel_y1_kernel_cudaERNS_18TensorIteratorBaseEENKUlvE_clEvENKUlvE0_clEvEUlfE_i15function_traitsIS7_EEENT1_11result_typeERKT_PrKPcPKT0_PKN3c1010ScalarTypeEi.has_recursion)
	.set _ZN2at6native32elementwise_kernel_manual_unrollILi128ELi4EZNS0_15gpu_kernel_implIZZZNS0_12_GLOBAL__N_121bessel_y1_kernel_cudaERNS_18TensorIteratorBaseEENKUlvE_clEvENKUlvE0_clEvEUlfE_EEvS5_RKT_EUlibE_EEviT1_.has_indirect_call, or(0, .L_ZN2at6native6invokeIZZZNS0_12_GLOBAL__N_121bessel_y1_kernel_cudaERNS_18TensorIteratorBaseEENKUlvE_clEvENKUlvE0_clEvEUlfE_i15function_traitsIS7_EEENT1_11result_typeERKT_PrKPcPKT0_PKN3c1010ScalarTypeEi.has_indirect_call)
	.section	.AMDGPU.csdata,"",@progbits
; Kernel info:
; codeLenInByte = 16296
; TotalNumSgprs: 37
; NumVgprs: 36
; ScratchSize: 0
; MemoryBound: 0
; FloatMode: 240
; IeeeMode: 1
; LDSByteSize: 0 bytes/workgroup (compile time only)
; SGPRBlocks: 0
; VGPRBlocks: 4
; NumSGPRsForWavesPerEU: 37
; NumVGPRsForWavesPerEU: 36
; Occupancy: 16
; WaveLimiterHint : 0
; COMPUTE_PGM_RSRC2:SCRATCH_EN: 0
; COMPUTE_PGM_RSRC2:USER_SGPR: 6
; COMPUTE_PGM_RSRC2:TRAP_HANDLER: 0
; COMPUTE_PGM_RSRC2:TGID_X_EN: 1
; COMPUTE_PGM_RSRC2:TGID_Y_EN: 0
; COMPUTE_PGM_RSRC2:TGID_Z_EN: 0
; COMPUTE_PGM_RSRC2:TIDIG_COMP_CNT: 0
	.section	.text._ZN2at6native32elementwise_kernel_manual_unrollILi128ELi4EZNS0_15gpu_kernel_implIZZZNS0_12_GLOBAL__N_121bessel_y1_kernel_cudaERNS_18TensorIteratorBaseEENKUlvE_clEvENKUlvE0_clEvEUlfE_EEvS5_RKT_EUlibE0_EEviT1_,"axG",@progbits,_ZN2at6native32elementwise_kernel_manual_unrollILi128ELi4EZNS0_15gpu_kernel_implIZZZNS0_12_GLOBAL__N_121bessel_y1_kernel_cudaERNS_18TensorIteratorBaseEENKUlvE_clEvENKUlvE0_clEvEUlfE_EEvS5_RKT_EUlibE0_EEviT1_,comdat
	.globl	_ZN2at6native32elementwise_kernel_manual_unrollILi128ELi4EZNS0_15gpu_kernel_implIZZZNS0_12_GLOBAL__N_121bessel_y1_kernel_cudaERNS_18TensorIteratorBaseEENKUlvE_clEvENKUlvE0_clEvEUlfE_EEvS5_RKT_EUlibE0_EEviT1_ ; -- Begin function _ZN2at6native32elementwise_kernel_manual_unrollILi128ELi4EZNS0_15gpu_kernel_implIZZZNS0_12_GLOBAL__N_121bessel_y1_kernel_cudaERNS_18TensorIteratorBaseEENKUlvE_clEvENKUlvE0_clEvEUlfE_EEvS5_RKT_EUlibE0_EEviT1_
	.p2align	8
	.type	_ZN2at6native32elementwise_kernel_manual_unrollILi128ELi4EZNS0_15gpu_kernel_implIZZZNS0_12_GLOBAL__N_121bessel_y1_kernel_cudaERNS_18TensorIteratorBaseEENKUlvE_clEvENKUlvE0_clEvEUlfE_EEvS5_RKT_EUlibE0_EEviT1_,@function
_ZN2at6native32elementwise_kernel_manual_unrollILi128ELi4EZNS0_15gpu_kernel_implIZZZNS0_12_GLOBAL__N_121bessel_y1_kernel_cudaERNS_18TensorIteratorBaseEENKUlvE_clEvENKUlvE0_clEvEUlfE_EEvS5_RKT_EUlibE0_EEviT1_: ; @_ZN2at6native32elementwise_kernel_manual_unrollILi128ELi4EZNS0_15gpu_kernel_implIZZZNS0_12_GLOBAL__N_121bessel_y1_kernel_cudaERNS_18TensorIteratorBaseEENKUlvE_clEvENKUlvE0_clEvEUlfE_EEvS5_RKT_EUlibE0_EEviT1_
; %bb.0:
	s_clause 0x1
	s_load_dword s24, s[4:5], 0x8
	s_load_dword s33, s[4:5], 0x0
	v_lshl_or_b32 v8, s6, 9, v0
	s_add_u32 s6, s4, 8
	s_addc_u32 s7, s5, 0
	s_mov_b32 s1, -1
	s_mov_b32 s26, 0
	v_or_b32_e32 v15, 0x180, v8
	s_mov_b32 s12, 0
	s_mov_b32 s0, exec_lo
	s_waitcnt lgkmcnt(0)
	s_add_i32 s25, s24, -1
	s_cmp_gt_u32 s25, 1
	s_cselect_b32 s27, -1, 0
	v_cmpx_le_i32_e64 s33, v15
	s_xor_b32 s28, exec_lo, s0
	s_cbranch_execz .LBB22_1153
; %bb.1:
	v_mov_b32_e32 v0, 0
	s_clause 0x3
	s_load_dwordx4 s[16:19], s[6:7], 0x4
	s_load_dwordx2 s[20:21], s[6:7], 0x14
	s_load_dwordx4 s[12:15], s[6:7], 0xc4
	s_load_dwordx4 s[8:11], s[6:7], 0x148
	s_cmp_lg_u32 s24, 0
	s_mov_b32 s39, 0
	s_cselect_b32 s34, -1, 0
	global_load_ushort v0, v0, s[6:7] offset:345
	s_add_u32 s22, s6, 0xc4
	s_addc_u32 s23, s7, 0
	s_min_u32 s35, s25, 15
	s_cmp_gt_u32 s24, 1
	s_mov_b32 s37, 0
	s_cselect_b32 s31, -1, 0
	s_mov_b32 s36, 0
	s_mov_b32 s38, exec_lo
	s_waitcnt vmcnt(0)
	v_readfirstlane_b32 s29, v0
	s_and_b32 s0, 0xffff, s29
	s_lshr_b32 s30, s0, 8
	v_cmpx_gt_i32_e64 s33, v8
	s_cbranch_execz .LBB22_282
; %bb.2:
	s_andn2_b32 vcc_lo, exec_lo, s27
	s_cbranch_vccnz .LBB22_7
; %bb.3:
	s_andn2_b32 vcc_lo, exec_lo, s34
	s_cbranch_vccnz .LBB22_8
; %bb.4:
	s_add_i32 s37, s35, 1
	s_cmp_eq_u32 s25, 2
	s_cbranch_scc1 .LBB22_9
; %bb.5:
	v_mov_b32_e32 v2, 0
	v_mov_b32_e32 v0, 0
	;; [unrolled: 1-line block ×3, first 2 shown]
	s_and_b32 s36, s37, 28
	s_mov_b32 s40, 0
	s_mov_b64 s[0:1], s[6:7]
	s_mov_b64 s[2:3], s[22:23]
.LBB22_6:                               ; =>This Inner Loop Header: Depth=1
	s_clause 0x1
	s_load_dwordx8 s[44:51], s[0:1], 0x4
	s_load_dwordx4 s[60:63], s[0:1], 0x24
	s_load_dwordx8 s[52:59], s[2:3], 0x0
	s_add_u32 s0, s0, 48
	s_addc_u32 s1, s1, 0
	s_add_i32 s40, s40, 4
	s_add_u32 s2, s2, 32
	s_addc_u32 s3, s3, 0
	s_cmp_lg_u32 s36, s40
	s_waitcnt lgkmcnt(0)
	v_mul_hi_u32 v3, s45, v1
	v_add_nc_u32_e32 v3, v1, v3
	v_lshrrev_b32_e32 v3, s46, v3
	v_mul_hi_u32 v4, s48, v3
	v_mul_lo_u32 v6, v3, s44
	v_add_nc_u32_e32 v4, v3, v4
	v_sub_nc_u32_e32 v1, v1, v6
	v_lshrrev_b32_e32 v4, s49, v4
	v_mul_lo_u32 v6, v1, s52
	v_mul_lo_u32 v9, v1, s53
	v_mul_hi_u32 v5, s51, v4
	v_add_nc_u32_e32 v5, v4, v5
	v_lshrrev_b32_e32 v5, s60, v5
	v_mul_hi_u32 v7, s62, v5
	v_mul_lo_u32 v10, v5, s50
	v_add_nc_u32_e32 v1, v5, v7
	v_mul_lo_u32 v7, v4, s47
	v_sub_nc_u32_e32 v4, v4, v10
	v_lshrrev_b32_e32 v1, s63, v1
	v_mul_lo_u32 v10, v4, s56
	v_mul_lo_u32 v4, v4, s57
	v_sub_nc_u32_e32 v3, v3, v7
	v_mul_lo_u32 v11, v1, s61
	v_mul_lo_u32 v7, v3, s54
	;; [unrolled: 1-line block ×3, first 2 shown]
	v_sub_nc_u32_e32 v5, v5, v11
	v_add3_u32 v0, v6, v0, v7
	v_mul_lo_u32 v11, v5, s58
	v_mul_lo_u32 v5, v5, s59
	v_add3_u32 v2, v9, v2, v3
	v_add3_u32 v0, v10, v0, v11
	v_add3_u32 v2, v4, v2, v5
	s_cbranch_scc1 .LBB22_6
	s_branch .LBB22_10
.LBB22_7:
                                        ; implicit-def: $vgpr0
                                        ; implicit-def: $vgpr2
	s_branch .LBB22_14
.LBB22_8:
	v_mov_b32_e32 v0, 0
	v_mov_b32_e32 v2, 0
	s_branch .LBB22_13
.LBB22_9:
	v_mov_b32_e32 v0, 0
	v_mov_b32_e32 v2, 0
	;; [unrolled: 1-line block ×3, first 2 shown]
.LBB22_10:
	s_and_b32 s37, s37, 3
	s_cmp_eq_u32 s37, 0
	s_cbranch_scc1 .LBB22_13
; %bb.11:
	s_lshl_b32 s0, s36, 3
	s_mul_i32 s2, s36, 12
	s_add_u32 s0, s6, s0
	s_addc_u32 s1, s7, 0
	s_add_u32 s0, s0, 0xc4
	s_addc_u32 s1, s1, 0
	;; [unrolled: 2-line block ×3, first 2 shown]
	.p2align	6
.LBB22_12:                              ; =>This Inner Loop Header: Depth=1
	s_clause 0x1
	s_load_dwordx2 s[40:41], s[2:3], 0x4
	s_load_dword s36, s[2:3], 0xc
	s_load_dwordx2 s[42:43], s[0:1], 0x0
	s_add_u32 s2, s2, 12
	s_addc_u32 s3, s3, 0
	s_add_u32 s0, s0, 8
	s_addc_u32 s1, s1, 0
	s_add_i32 s37, s37, -1
	s_cmp_lg_u32 s37, 0
	s_waitcnt lgkmcnt(0)
	v_mul_hi_u32 v3, s41, v1
	v_add_nc_u32_e32 v3, v1, v3
	v_lshrrev_b32_e32 v4, s36, v3
	v_mul_lo_u32 v3, v4, s40
	v_sub_nc_u32_e32 v3, v1, v3
	v_mad_u64_u32 v[0:1], null, v3, s42, v[0:1]
	v_mad_u64_u32 v[2:3], null, v3, s43, v[2:3]
	v_mov_b32_e32 v1, v4
	s_cbranch_scc1 .LBB22_12
.LBB22_13:
	s_cbranch_execnz .LBB22_16
.LBB22_14:
	s_waitcnt lgkmcnt(0)
	v_mul_hi_u32 v0, s17, v8
	s_andn2_b32 vcc_lo, exec_lo, s31
	v_add_nc_u32_e32 v0, v8, v0
	v_lshrrev_b32_e32 v1, s18, v0
	v_mul_lo_u32 v0, v1, s16
	v_sub_nc_u32_e32 v2, v8, v0
	v_mul_lo_u32 v0, v2, s12
	v_mul_lo_u32 v2, v2, s13
	s_cbranch_vccnz .LBB22_16
; %bb.15:
	v_mul_hi_u32 v3, s20, v1
	v_add_nc_u32_e32 v3, v1, v3
	v_lshrrev_b32_e32 v3, s21, v3
	v_mul_lo_u32 v3, v3, s19
	v_sub_nc_u32_e32 v3, v1, v3
	v_mad_u64_u32 v[0:1], null, v3, s14, v[0:1]
	v_mad_u64_u32 v[2:3], null, v3, s15, v[2:3]
.LBB22_16:
	s_waitcnt lgkmcnt(0)
	v_add_co_u32 v1, s0, s10, v2
	v_add_co_ci_u32_e64 v2, null, s11, 0, s0
	s_and_b32 s0, 0xffff, s30
	s_cmp_lt_i32 s0, 11
	s_cbranch_scc1 .LBB22_23
; %bb.17:
	s_cmp_gt_i32 s0, 25
	s_cbranch_scc0 .LBB22_34
; %bb.18:
	s_cmp_gt_i32 s0, 28
	s_cbranch_scc0 .LBB22_51
	;; [unrolled: 3-line block ×4, first 2 shown]
; %bb.21:
	s_cmp_eq_u32 s0, 46
	s_mov_b32 s2, 0
	s_cbranch_scc0 .LBB22_57
; %bb.22:
	global_load_dword v3, v[1:2], off
	s_mov_b32 s1, -1
	s_mov_b32 s3, 0
	s_waitcnt vmcnt(0)
	v_lshlrev_b32_e32 v3, 16, v3
	s_branch .LBB22_59
.LBB22_23:
	s_mov_b32 s3, 0
	s_mov_b32 s1, 0
                                        ; implicit-def: $vgpr3
	s_cbranch_execnz .LBB22_232
.LBB22_24:
	s_andn2_b32 vcc_lo, exec_lo, s1
	s_cbranch_vccnz .LBB22_279
.LBB22_25:
                                        ; implicit-def: $vgpr1
	s_mov_b32 s0, exec_lo
	s_waitcnt vmcnt(0)
	v_cmpx_ge_f32_e32 0x40a00000, v3
	s_xor_b32 s36, exec_lo, s0
	s_cbranch_execz .LBB22_31
; %bb.26:
	v_mov_b32_e32 v1, 0xff800000
	s_mov_b32 s37, exec_lo
	v_cmpx_neq_f32_e32 0, v3
	s_cbranch_execz .LBB22_30
; %bb.27:
	v_mov_b32_e32 v1, 0x7fc00000
	s_mov_b32 s40, exec_lo
	v_cmpx_nge_f32_e32 0, v3
	s_cbranch_execz .LBB22_29
; %bb.28:
	v_mul_f32_e32 v1, v3, v3
	v_cmp_gt_f32_e64 s0, 0x800000, v3
	v_div_scale_f32 v12, null, v3, v3, -1.0
	v_div_scale_f32 v21, s2, -1.0, v3, -1.0
	v_fmaak_f32 v2, 0, v1, 0x4414934d
	v_fmaak_f32 v4, 0, v1, 0x441b3589
	;; [unrolled: 1-line block ×4, first 2 shown]
	v_cndmask_b32_e64 v11, 0, 32, s0
	v_fmaak_f32 v2, v1, v2, 0x48660b06
	v_fmaak_f32 v4, v1, v4, 0x487af6d0
	;; [unrolled: 1-line block ×4, first 2 shown]
	v_rcp_f32_e32 v13, v12
	v_fmaak_f32 v2, v1, v2, 0x4c8c277d
	v_fmaak_f32 v4, v1, v4, 0x4c9f4aa7
	;; [unrolled: 1-line block ×4, first 2 shown]
	v_ldexp_f32 v11, v3, v11
	v_fmaak_f32 v2, v1, v2, 0x508bc61d
	v_fmaak_f32 v4, v1, v4, 0x50a509fc
	;; [unrolled: 1-line block ×4, first 2 shown]
	v_log_f32_e32 v11, v11
	v_fmaak_f32 v2, v1, v2, 0x5461faf8
	v_fmaak_f32 v4, v1, v4, 0x548a37dc
	;; [unrolled: 1-line block ×3, first 2 shown]
	v_fma_f32 v18, -v12, v13, 1.0
	v_fmaak_f32 v2, v1, v2, 0x580d1937
	v_fmaak_f32 v4, v1, v4, 0x58325852
	;; [unrolled: 1-line block ×3, first 2 shown]
	v_fmac_f32_e32 v13, v18, v13
	v_mul_f32_e32 v22, 0x3f317217, v11
	v_fmaak_f32 v2, v1, v2, 0x5b741f1e
	v_fmaak_f32 v4, v1, v4, 0x5b9f0600
	v_fma_f32 v18, 0x3f317217, v11, -v22
	v_fmaak_f32 v2, v1, v2, 0x5e5c878d
	v_fmaak_f32 v1, v1, v4, 0x5e93bcac
	v_div_scale_f32 v4, null, v2, v2, v5
	v_div_scale_f32 v7, null, v1, v1, v6
	v_div_scale_f32 v16, vcc_lo, v5, v2, v5
	v_rcp_f32_e32 v9, v4
	v_rcp_f32_e32 v10, v7
	v_div_scale_f32 v17, s1, v6, v1, v6
	v_fma_f32 v14, -v4, v9, 1.0
	v_fma_f32 v15, -v7, v10, 1.0
	v_fmac_f32_e32 v9, v14, v9
	v_fmac_f32_e32 v10, v15, v10
	v_mul_f32_e32 v14, v16, v9
	v_mul_f32_e32 v15, v17, v10
	v_fma_f32 v19, -v4, v14, v16
	v_fma_f32 v20, -v7, v15, v17
	v_fmac_f32_e32 v14, v19, v9
	v_fmac_f32_e32 v15, v20, v10
	v_fma_f32 v4, -v4, v14, v16
	v_mul_f32_e32 v16, v21, v13
	v_fma_f32 v7, -v7, v15, v17
	v_div_fmas_f32 v4, v4, v9, v14
	s_mov_b32 vcc_lo, s1
	v_fma_f32 v9, -v12, v16, v21
	v_div_fmas_f32 v7, v7, v10, v15
	v_fmamk_f32 v10, v11, 0x3377d1cf, v18
	v_cmp_gt_f32_e64 vcc_lo, 0x7f800000, |v11|
	v_div_fixup_f32 v2, v4, v2, v5
	v_fmac_f32_e32 v16, v9, v13
	v_div_fixup_f32 v1, v7, v1, v6
	v_fmac_f32_e32 v10, 0x3f317217, v11
	v_fmaak_f32 v6, v3, v3, 0xc16ae95a
	v_fmaak_f32 v7, v3, v3, 0xc244dfb3
	v_fma_f32 v12, -v12, v16, v21
	v_mul_f32_e32 v1, v3, v1
	v_cndmask_b32_e32 v10, v11, v10, vcc_lo
	s_mov_b32 vcc_lo, s2
	v_cndmask_b32_e64 v9, 0, 0x41b17218, s0
	v_mul_f32_e32 v1, v6, v1
	v_div_fmas_f32 v6, v12, v13, v16
	v_sub_f32_e32 v9, v10, v9
	v_mul_f32_e32 v1, v7, v1
	v_div_fixup_f32 v6, v6, v3, -1.0
	v_fmac_f32_e32 v6, v9, v1
	v_mul_f32_e32 v1, 0x3f22f983, v6
	v_fmac_f32_e32 v1, v3, v2
.LBB22_29:
	s_or_b32 exec_lo, exec_lo, s40
.LBB22_30:
	s_or_b32 exec_lo, exec_lo, s37
                                        ; implicit-def: $vgpr3
.LBB22_31:
	s_andn2_saveexec_b32 s36, s36
	s_cbranch_execz .LBB22_42
; %bb.32:
	v_add_f32_e32 v1, 0xc016cbe4, v3
                                        ; implicit-def: $vgpr5
                                        ; implicit-def: $vgpr4
	v_and_b32_e32 v2, 0x7fffffff, v1
	v_cmp_ngt_f32_e64 s2, 0x48000000, |v1|
	s_and_saveexec_b32 s0, s2
	s_xor_b32 s37, exec_lo, s0
	s_cbranch_execz .LBB22_35
; %bb.33:
	s_mov_b32 s0, 0x7fffff
	v_mov_b32_e32 v6, 0
	v_and_or_b32 v7, v2, s0, 0x800000
	v_lshrrev_b32_e32 v13, 23, v2
	v_mad_u64_u32 v[4:5], null, 0xfe5163ab, v7, 0
	v_add_nc_u32_e32 v14, 0xffffff88, v13
	v_cmp_lt_u32_e32 vcc_lo, 63, v14
	v_mad_u64_u32 v[9:10], null, 0x3c439041, v7, v[5:6]
	v_cndmask_b32_e64 v15, 0, 0xffffffc0, vcc_lo
	v_mov_b32_e32 v5, v10
	v_add_nc_u32_e32 v15, v15, v14
	v_mad_u64_u32 v[10:11], null, 0xdb629599, v7, v[5:6]
	v_cmp_lt_u32_e64 s0, 31, v15
	v_cndmask_b32_e64 v16, 0, 0xffffffe0, s0
	v_mov_b32_e32 v5, v11
	v_cndmask_b32_e32 v4, v10, v4, vcc_lo
	v_mad_u64_u32 v[11:12], null, 0xf534ddc0, v7, v[5:6]
	v_mov_b32_e32 v5, v12
	v_cndmask_b32_e32 v9, v11, v9, vcc_lo
	v_mad_u64_u32 v[12:13], null, 0xfc2757d1, v7, v[5:6]
	v_cndmask_b32_e64 v4, v9, v4, s0
	v_mov_b32_e32 v5, v13
	v_mad_u64_u32 v[13:14], null, 0x4e441529, v7, v[5:6]
	v_mov_b32_e32 v5, v14
	v_add_nc_u32_e32 v14, v16, v15
	v_cndmask_b32_e32 v15, v13, v11, vcc_lo
	v_mad_u64_u32 v[5:6], null, 0xa2f9836e, v7, v[5:6]
	v_cmp_lt_u32_e64 s1, 31, v14
	v_cndmask_b32_e64 v7, 0, 0xffffffe0, s1
	v_cndmask_b32_e32 v5, v5, v12, vcc_lo
	v_cndmask_b32_e32 v6, v6, v13, vcc_lo
	;; [unrolled: 1-line block ×3, first 2 shown]
	v_add_nc_u32_e32 v7, v7, v14
	v_cndmask_b32_e64 v11, v5, v15, s0
	v_cndmask_b32_e64 v5, v6, v5, s0
	v_cndmask_b32_e64 v6, v15, v12, s0
	v_cndmask_b32_e64 v12, v12, v9, s0
	v_sub_nc_u32_e32 v13, 32, v7
	v_cmp_eq_u32_e32 vcc_lo, 0, v7
	v_cndmask_b32_e64 v5, v5, v11, s1
	v_cndmask_b32_e64 v11, v11, v6, s1
	;; [unrolled: 1-line block ×4, first 2 shown]
	v_alignbit_b32 v14, v5, v11, v13
	v_alignbit_b32 v10, v11, v6, v13
	v_alignbit_b32 v12, v6, v4, v13
	v_cndmask_b32_e32 v5, v14, v5, vcc_lo
	v_cndmask_b32_e32 v7, v10, v11, vcc_lo
	;; [unrolled: 1-line block ×3, first 2 shown]
	v_bfe_u32 v9, v5, 29, 1
	v_alignbit_b32 v10, v5, v7, 30
	v_alignbit_b32 v7, v7, v6, 30
	;; [unrolled: 1-line block ×3, first 2 shown]
	v_sub_nc_u32_e32 v11, 0, v9
	v_xor_b32_e32 v10, v10, v11
	v_xor_b32_e32 v6, v7, v11
	;; [unrolled: 1-line block ×3, first 2 shown]
	v_lshrrev_b32_e32 v11, 29, v5
	v_lshrrev_b32_e32 v5, 30, v5
	v_ffbh_u32_e32 v12, v10
	v_add_nc_u32_e32 v5, v9, v5
	v_min_u32_e32 v12, 32, v12
	v_sub_nc_u32_e32 v7, 31, v12
	v_lshlrev_b32_e32 v13, 23, v12
	v_alignbit_b32 v10, v10, v6, v7
	v_alignbit_b32 v4, v6, v4, v7
	v_lshlrev_b32_e32 v6, 31, v11
	v_alignbit_b32 v7, v10, v4, 9
	v_or_b32_e32 v11, 0.5, v6
	v_lshrrev_b32_e32 v10, 9, v10
	v_or_b32_e32 v6, 0x33000000, v6
	v_ffbh_u32_e32 v14, v7
	v_sub_nc_u32_e32 v11, v11, v13
	v_min_u32_e32 v13, 32, v14
	v_or_b32_e32 v10, v10, v11
	v_not_b32_e32 v11, v13
	v_mul_f32_e32 v14, 0x3fc90fda, v10
	v_add_lshl_u32 v12, v13, v12, 23
	v_alignbit_b32 v4, v7, v4, v11
	v_fma_f32 v7, 0x3fc90fda, v10, -v14
	v_sub_nc_u32_e32 v6, v6, v12
	v_lshrrev_b32_e32 v4, 9, v4
	v_fmamk_f32 v7, v10, 0x33a22168, v7
	v_or_b32_e32 v4, v6, v4
	v_fmac_f32_e32 v7, 0x3fc90fda, v4
	v_add_f32_e32 v4, v14, v7
	s_andn2_saveexec_b32 s0, s37
	s_branch .LBB22_36
.LBB22_34:
	s_mov_b32 s3, 0
	s_mov_b32 s1, 0
                                        ; implicit-def: $vgpr3
	s_cbranch_execnz .LBB22_197
	s_branch .LBB22_231
.LBB22_35:
	s_andn2_saveexec_b32 s0, s37
.LBB22_36:
	v_mul_f32_e64 v4, 0x3f22f983, |v1|
	v_rndne_f32_e32 v5, v4
	v_fma_f32 v4, 0xbfc90fda, v5, |v1|
	v_fmamk_f32 v4, v5, 0xb3a22168, v4
	v_fmamk_f32 v4, v5, 0xa7c234c4, v4
	v_cvt_i32_f32_e32 v5, v5
; %bb.37:
	s_or_b32 exec_lo, exec_lo, s0
                                        ; implicit-def: $vgpr7
                                        ; implicit-def: $vgpr6
	s_and_saveexec_b32 s0, s2
	s_xor_b32 s2, exec_lo, s0
	s_cbranch_execz .LBB22_39
; %bb.38:
	s_mov_b32 s0, 0x7fffff
	v_mov_b32_e32 v10, 0
	v_and_or_b32 v17, v2, s0, 0x800000
	v_mad_u64_u32 v[6:7], null, 0xfe5163ab, v17, 0
	v_mov_b32_e32 v9, v7
	v_lshrrev_b32_e32 v7, 23, v2
	v_mad_u64_u32 v[11:12], null, 0x3c439041, v17, v[9:10]
	v_add_nc_u32_e32 v7, 0xffffff88, v7
	v_cmp_lt_u32_e32 vcc_lo, 63, v7
	v_mov_b32_e32 v9, v12
	v_cndmask_b32_e64 v16, 0, 0xffffffc0, vcc_lo
	v_mad_u64_u32 v[12:13], null, 0xdb629599, v17, v[9:10]
	v_add_nc_u32_e32 v7, v16, v7
	v_mov_b32_e32 v9, v13
	v_cmp_lt_u32_e64 s0, 31, v7
	v_cndmask_b32_e32 v6, v12, v6, vcc_lo
	v_mad_u64_u32 v[13:14], null, 0xf534ddc0, v17, v[9:10]
	v_cndmask_b32_e64 v18, 0, 0xffffffe0, s0
	v_add_nc_u32_e32 v7, v18, v7
	v_mov_b32_e32 v9, v14
	v_cndmask_b32_e32 v11, v13, v11, vcc_lo
	v_cmp_lt_u32_e64 s1, 31, v7
	v_mad_u64_u32 v[14:15], null, 0xfc2757d1, v17, v[9:10]
	v_cndmask_b32_e64 v6, v11, v6, s0
	v_mov_b32_e32 v9, v15
	v_mad_u64_u32 v[15:16], null, 0x4e441529, v17, v[9:10]
	v_mov_b32_e32 v9, v16
	v_cndmask_b32_e64 v16, 0, 0xffffffe0, s1
	v_mad_u64_u32 v[9:10], null, 0xa2f9836e, v17, v[9:10]
	v_cndmask_b32_e32 v17, v15, v13, vcc_lo
	v_add_nc_u32_e32 v7, v16, v7
	v_cndmask_b32_e32 v9, v9, v14, vcc_lo
	v_cndmask_b32_e32 v10, v10, v15, vcc_lo
	;; [unrolled: 1-line block ×3, first 2 shown]
	v_sub_nc_u32_e32 v15, 32, v7
	v_cmp_eq_u32_e32 vcc_lo, 0, v7
	v_cndmask_b32_e64 v13, v9, v17, s0
	v_cndmask_b32_e64 v9, v10, v9, s0
	;; [unrolled: 1-line block ×8, first 2 shown]
	v_alignbit_b32 v16, v9, v13, v15
	v_alignbit_b32 v12, v13, v10, v15
	;; [unrolled: 1-line block ×3, first 2 shown]
	v_cndmask_b32_e32 v7, v16, v9, vcc_lo
	v_cndmask_b32_e32 v9, v12, v13, vcc_lo
	;; [unrolled: 1-line block ×3, first 2 shown]
	v_bfe_u32 v11, v7, 29, 1
	v_alignbit_b32 v12, v7, v9, 30
	v_alignbit_b32 v9, v9, v10, 30
	;; [unrolled: 1-line block ×3, first 2 shown]
	v_sub_nc_u32_e32 v13, 0, v11
	v_xor_b32_e32 v12, v12, v13
	v_xor_b32_e32 v9, v9, v13
	;; [unrolled: 1-line block ×3, first 2 shown]
	v_lshrrev_b32_e32 v13, 29, v7
	v_lshrrev_b32_e32 v7, 30, v7
	v_ffbh_u32_e32 v14, v12
	v_add_nc_u32_e32 v7, v11, v7
	v_min_u32_e32 v14, 32, v14
	v_sub_nc_u32_e32 v10, 31, v14
	v_lshlrev_b32_e32 v15, 23, v14
	v_alignbit_b32 v12, v12, v9, v10
	v_alignbit_b32 v6, v9, v6, v10
	v_lshlrev_b32_e32 v9, 31, v13
	v_alignbit_b32 v10, v12, v6, 9
	v_or_b32_e32 v13, 0.5, v9
	v_lshrrev_b32_e32 v12, 9, v12
	v_or_b32_e32 v9, 0x33000000, v9
	v_ffbh_u32_e32 v16, v10
	v_sub_nc_u32_e32 v13, v13, v15
	v_min_u32_e32 v15, 32, v16
	v_or_b32_e32 v12, v12, v13
	v_not_b32_e32 v13, v15
	v_mul_f32_e32 v16, 0x3fc90fda, v12
	v_add_lshl_u32 v14, v15, v14, 23
	v_alignbit_b32 v6, v10, v6, v13
	v_fma_f32 v10, 0x3fc90fda, v12, -v16
	v_sub_nc_u32_e32 v9, v9, v14
	v_lshrrev_b32_e32 v6, 9, v6
	v_fmamk_f32 v10, v12, 0x33a22168, v10
	v_or_b32_e32 v6, v9, v6
	v_fmac_f32_e32 v10, 0x3fc90fda, v6
	v_add_f32_e32 v6, v16, v10
	s_andn2_saveexec_b32 s0, s2
	s_cbranch_execnz .LBB22_40
	s_branch .LBB22_41
.LBB22_39:
	s_andn2_saveexec_b32 s0, s2
.LBB22_40:
	v_mul_f32_e64 v6, 0x3f22f983, |v1|
	v_rndne_f32_e32 v7, v6
	v_fma_f32 v6, 0xbfc90fda, v7, |v1|
	v_fmamk_f32 v6, v7, 0xb3a22168, v6
	v_fmamk_f32 v6, v7, 0xa7c234c4, v6
	v_cvt_i32_f32_e32 v7, v7
.LBB22_41:
	s_or_b32 exec_lo, exec_lo, s0
	v_div_scale_f32 v9, null, v3, v3, 0x40a00000
	v_div_scale_f32 v12, vcc_lo, 0x40a00000, v3, 0x40a00000
	s_mov_b32 s0, 0xb94c1982
	v_rcp_f32_e32 v10, v9
	v_mul_f32_e32 v19, 0x4f800000, v3
	s_mov_b32 s1, 0x37d75334
	v_and_b32_e32 v14, 1, v7
	v_xor_b32_e32 v2, v2, v1
	v_lshlrev_b32_e32 v7, 30, v7
	v_and_b32_e32 v7, 0x80000000, v7
	v_fma_f32 v11, -v9, v10, 1.0
	v_fmac_f32_e32 v10, v11, v10
	v_mul_f32_e32 v11, v12, v10
	v_fma_f32 v13, -v9, v11, v12
	v_fmac_f32_e32 v11, v13, v10
	v_mul_f32_e32 v13, v6, v6
	v_fma_f32 v9, -v9, v11, v12
	v_fmaak_f32 v22, s0, v13, 0x3c0881c4
	v_fmaak_f32 v23, s1, v13, 0xbab64f3b
	v_div_fmas_f32 v9, v9, v10, v11
	v_mul_f32_e32 v10, v4, v4
	v_fmaak_f32 v23, v13, v23, 0x3d2aabf7
	v_and_b32_e32 v11, 1, v5
	v_fmaak_f32 v22, v13, v22, 0xbe2aaa9d
	v_div_fixup_f32 v9, v9, v3, 0x40a00000
	v_fmaak_f32 v20, s0, v10, 0x3c0881c4
	v_cmp_gt_f32_e64 s0, 0xf800000, v3
	v_fmaak_f32 v21, s1, v10, 0xbab64f3b
	v_fmaak_f32 v23, v13, v23, 0xbf000004
	v_mul_f32_e32 v12, v9, v9
	v_fmaak_f32 v20, v10, v20, 0xbe2aaa9d
	v_cndmask_b32_e64 v3, v3, v19, s0
	v_fmaak_f32 v21, v10, v21, 0x3d2aabf7
	v_mul_f32_e32 v22, v13, v22
	v_fmaak_f32 v15, 0, v12, 0x3d513fd3
	v_fmaak_f32 v16, 0, v12, 0x3a15c4d9
	;; [unrolled: 1-line block ×4, first 2 shown]
	v_mul_f32_e32 v20, v10, v20
	v_fmaak_f32 v15, v12, v15, 0x409f6dae
	v_fmaak_f32 v16, v12, v16, 0x3d8cfeeb
	;; [unrolled: 1-line block ×9, first 2 shown]
	v_fmac_f32_e32 v4, v4, v20
	v_fmaak_f32 v15, v12, v15, 0x43b763ca
	v_fmaak_f32 v16, v12, v16, 0x40a25d18
	;; [unrolled: 1-line block ×4, first 2 shown]
	v_sqrt_f32_e32 v26, v3
	v_fmaak_f32 v15, v12, v15, 0x4431b6ce
	v_fmaak_f32 v16, v12, v16, 0x410665cf
	;; [unrolled: 1-line block ×4, first 2 shown]
	v_fma_f32 v10, v10, v21, 1.0
	v_fmaak_f32 v15, v12, v15, 0x44155f56
	v_fmaak_f32 v16, v12, v16, 0x40a6b6ea
	;; [unrolled: 1-line block ×4, first 2 shown]
	v_fma_f32 v13, v13, v23, 1.0
	v_fmaak_f32 v15, v12, v15, 0x4353b052
	v_fma_f32 v16, v12, v16, 1.0
	v_fma_f32 v17, v12, v17, 1.0
	v_fmaak_f32 v18, v12, v18, 0x43a80bfb
	v_cmp_eq_u32_e64 s2, 0, v11
	v_fmaak_f32 v12, v12, v15, 0x41c9a7fa
	v_lshlrev_b32_e32 v5, 30, v5
	v_div_scale_f32 v15, null, v16, v16, v17
	v_div_scale_f32 v29, vcc_lo, v17, v16, v17
	v_div_scale_f32 v24, null, v18, v18, v12
	v_rcp_f32_e32 v19, v15
	v_fmac_f32_e32 v6, v6, v22
	v_cndmask_b32_e64 v4, v10, v4, s2
	v_rcp_f32_e32 v25, v24
	v_cmp_eq_u32_e64 s2, 0, v14
	v_and_b32_e32 v5, 0x80000000, v5
	v_add_nc_u32_e32 v22, -1, v26
	v_cndmask_b32_e64 v6, -v6, v13, s2
	v_fma_f32 v27, -v15, v19, 1.0
	v_fma_f32 v10, -v22, v26, v3
	v_xor3_b32 v2, v2, v5, v4
	v_fma_f32 v28, -v24, v25, 1.0
	v_xor_b32_e32 v6, v7, v6
	v_fmac_f32_e32 v19, v27, v19
	v_div_scale_f32 v27, s1, v12, v18, v12
	v_fmac_f32_e32 v25, v28, v25
	v_add_nc_u32_e32 v28, 1, v26
	v_mul_f32_e32 v20, v29, v19
	v_mul_f32_e32 v21, v27, v25
	v_fma_f32 v11, -v28, v26, v3
	v_fma_f32 v23, -v15, v20, v29
	;; [unrolled: 1-line block ×3, first 2 shown]
	v_fmac_f32_e32 v20, v23, v19
	v_fmac_f32_e32 v21, v30, v25
	v_fma_f32 v13, -v15, v20, v29
	v_fma_f32 v4, -v24, v21, v27
	v_div_fmas_f32 v5, v13, v19, v20
	s_mov_b32 vcc_lo, s1
	v_cmp_ge_f32_e64 s1, 0, v10
	v_div_fmas_f32 v4, v4, v25, v21
	v_cmp_class_f32_e64 vcc_lo, v1, 0x1f8
	v_div_fixup_f32 v5, v5, v16, v17
	v_cndmask_b32_e64 v1, v26, v22, s1
	v_div_fixup_f32 v4, v4, v18, v12
	v_cmp_lt_f32_e64 s1, 0, v11
	v_cndmask_b32_e32 v6, 0x7fc00000, v6, vcc_lo
	v_cndmask_b32_e32 v2, 0x7fc00000, v2, vcc_lo
	v_cmp_class_f32_e64 vcc_lo, v3, 0x260
	v_mul_f32_e32 v4, v9, v4
	v_cndmask_b32_e64 v1, v1, v28, s1
	v_mul_f32_e32 v4, v4, v6
	v_mul_f32_e32 v7, 0x37800000, v1
	v_fmac_f32_e32 v4, v5, v2
	v_cndmask_b32_e64 v1, v1, v7, s0
	v_mul_f32_e32 v2, 0x3f4c422a, v4
	v_cndmask_b32_e32 v1, v1, v3, vcc_lo
	v_div_scale_f32 v3, null, v1, v1, v2
	v_rcp_f32_e32 v4, v3
	v_fma_f32 v5, -v3, v4, 1.0
	v_fmac_f32_e32 v4, v5, v4
	v_div_scale_f32 v5, vcc_lo, v2, v1, v2
	v_mul_f32_e32 v6, v5, v4
	v_fma_f32 v7, -v3, v6, v5
	v_fmac_f32_e32 v6, v7, v4
	v_fma_f32 v3, -v3, v6, v5
	v_div_fmas_f32 v3, v3, v4, v6
	v_div_fixup_f32 v1, v3, v1, v2
.LBB22_42:
	s_or_b32 exec_lo, exec_lo, s36
	v_add_co_u32 v3, s0, s8, v0
	v_add_co_ci_u32_e64 v4, null, s9, 0, s0
	s_and_b32 s1, s29, 0xff
	s_cmp_lt_i32 s1, 11
	s_cbranch_scc1 .LBB22_49
; %bb.43:
	s_and_b32 s2, 0xffff, s1
	s_cmp_gt_i32 s2, 25
	s_cbranch_scc0 .LBB22_52
; %bb.44:
	s_cmp_gt_i32 s2, 28
	s_cbranch_scc0 .LBB22_54
; %bb.45:
	;; [unrolled: 3-line block ×4, first 2 shown]
	s_mov_b32 s37, 0
	s_mov_b32 s0, -1
	s_cmp_eq_u32 s2, 46
	s_mov_b32 s36, 0
	s_cbranch_scc0 .LBB22_63
; %bb.48:
	v_bfe_u32 v0, v1, 16, 1
	v_cmp_o_f32_e32 vcc_lo, v1, v1
	v_mov_b32_e32 v2, 0x7fc0
	s_mov_b32 s36, -1
	s_mov_b32 s0, 0
	v_add3_u32 v0, v1, v0, 0x7fff
	v_cndmask_b32_sdwa v0, v2, v0, vcc_lo dst_sel:DWORD dst_unused:UNUSED_PAD src0_sel:DWORD src1_sel:WORD_1
	global_store_dword v[3:4], v0, off
	s_branch .LBB22_63
.LBB22_49:
	s_mov_b32 s0, 0
	s_mov_b32 s36, 0
	s_cbranch_execnz .LBB22_132
.LBB22_50:
	s_andn2_b32 vcc_lo, exec_lo, s36
	s_cbranch_vccz .LBB22_170
	s_branch .LBB22_280
.LBB22_51:
	s_mov_b32 s2, -1
	s_mov_b32 s3, 0
	s_mov_b32 s1, 0
                                        ; implicit-def: $vgpr3
	s_branch .LBB22_178
.LBB22_52:
	s_mov_b32 s37, -1
	s_mov_b32 s0, 0
	s_mov_b32 s36, 0
	s_branch .LBB22_90
.LBB22_53:
	s_mov_b32 s2, -1
	s_mov_b32 s3, 0
	s_mov_b32 s1, 0
                                        ; implicit-def: $vgpr3
	s_branch .LBB22_173
.LBB22_54:
	s_mov_b32 s37, -1
	s_mov_b32 s0, 0
	s_mov_b32 s36, 0
	s_branch .LBB22_73
.LBB22_55:
	s_mov_b32 s2, -1
	s_mov_b32 s3, 0
	s_branch .LBB22_58
.LBB22_56:
	s_mov_b32 s37, -1
	s_mov_b32 s0, 0
	s_mov_b32 s36, 0
	s_branch .LBB22_69
.LBB22_57:
	s_mov_b32 s3, -1
.LBB22_58:
	s_mov_b32 s1, 0
                                        ; implicit-def: $vgpr3
.LBB22_59:
	s_and_b32 vcc_lo, exec_lo, s2
	s_cbranch_vccz .LBB22_172
; %bb.60:
	s_cmp_eq_u32 s0, 44
	s_cbranch_scc0 .LBB22_171
; %bb.61:
	global_load_ubyte v3, v[1:2], off
	s_mov_b32 s3, 0
	s_mov_b32 s1, -1
	s_waitcnt vmcnt(0)
	v_lshlrev_b32_e32 v4, 23, v3
	v_cmp_ne_u32_e32 vcc_lo, 0xff, v3
	v_cndmask_b32_e32 v4, 0x7f800001, v4, vcc_lo
	v_cmp_ne_u32_e32 vcc_lo, 0, v3
	v_cndmask_b32_e32 v3, 0x400000, v4, vcc_lo
	s_branch .LBB22_172
.LBB22_62:
	s_mov_b32 s37, -1
	s_mov_b32 s0, 0
	s_mov_b32 s36, 0
.LBB22_63:
	s_and_b32 vcc_lo, exec_lo, s37
	s_cbranch_vccz .LBB22_68
; %bb.64:
	s_cmp_eq_u32 s2, 44
	s_mov_b32 s0, -1
	s_cbranch_scc0 .LBB22_68
; %bb.65:
	v_bfe_u32 v2, v1, 23, 8
	v_mov_b32_e32 v0, 0xff
	s_mov_b32 s36, exec_lo
	v_cmpx_ne_u32_e32 0xff, v2
	s_cbranch_execz .LBB22_67
; %bb.66:
	v_and_b32_e32 v0, 0x400000, v1
	v_and_or_b32 v2, 0x3fffff, v1, v2
	v_cmp_ne_u32_e32 vcc_lo, 0, v0
	v_cmp_ne_u32_e64 s0, 0, v2
	v_lshrrev_b32_e32 v0, 23, v1
	s_and_b32 s0, vcc_lo, s0
	v_cndmask_b32_e64 v2, 0, 1, s0
	v_add_nc_u32_e32 v0, v0, v2
.LBB22_67:
	s_or_b32 exec_lo, exec_lo, s36
	s_mov_b32 s36, -1
	s_mov_b32 s0, 0
	global_store_byte v[3:4], v0, off
.LBB22_68:
	s_mov_b32 s37, 0
.LBB22_69:
	s_and_b32 vcc_lo, exec_lo, s37
	s_cbranch_vccz .LBB22_72
; %bb.70:
	s_cmp_eq_u32 s2, 29
	s_mov_b32 s0, -1
	s_cbranch_scc0 .LBB22_72
; %bb.71:
	v_trunc_f32_e32 v0, v1
	s_mov_b32 s36, -1
	s_mov_b32 s0, 0
	s_mov_b32 s37, 0
	v_mul_f32_e32 v2, 0x2f800000, v0
	v_floor_f32_e32 v2, v2
	v_fmamk_f32 v0, v2, 0xcf800000, v0
	v_cvt_u32_f32_e32 v6, v2
	v_cvt_u32_f32_e32 v5, v0
	global_store_dwordx2 v[3:4], v[5:6], off
	s_branch .LBB22_73
.LBB22_72:
	s_mov_b32 s37, 0
.LBB22_73:
	s_and_b32 vcc_lo, exec_lo, s37
	s_cbranch_vccz .LBB22_89
; %bb.74:
	s_cmp_lt_i32 s2, 27
	s_mov_b32 s36, -1
	s_cbranch_scc1 .LBB22_80
; %bb.75:
	v_cvt_u32_f32_e32 v0, v1
	s_cmp_gt_i32 s2, 27
	s_cbranch_scc0 .LBB22_77
; %bb.76:
	s_mov_b32 s36, 0
	global_store_dword v[3:4], v0, off
.LBB22_77:
	s_andn2_b32 vcc_lo, exec_lo, s36
	s_cbranch_vccnz .LBB22_79
; %bb.78:
	global_store_short v[3:4], v0, off
.LBB22_79:
	s_mov_b32 s36, 0
.LBB22_80:
	s_andn2_b32 vcc_lo, exec_lo, s36
	s_cbranch_vccnz .LBB22_88
; %bb.81:
	v_and_b32_e32 v0, 0x7fffffff, v1
	v_mov_b32_e32 v2, 0x80
	s_mov_b32 s36, exec_lo
	v_cmpx_gt_u32_e32 0x43800000, v0
	s_cbranch_execz .LBB22_87
; %bb.82:
	v_cmp_lt_u32_e32 vcc_lo, 0x3bffffff, v0
	s_mov_b32 s37, 0
                                        ; implicit-def: $vgpr0
	s_and_saveexec_b32 s40, vcc_lo
	s_xor_b32 s40, exec_lo, s40
	s_cbranch_execz .LBB22_339
; %bb.83:
	v_bfe_u32 v0, v1, 20, 1
	s_mov_b32 s37, exec_lo
	v_add3_u32 v0, v1, v0, 0x487ffff
	v_lshrrev_b32_e32 v0, 20, v0
	s_andn2_saveexec_b32 s40, s40
	s_cbranch_execnz .LBB22_340
.LBB22_84:
	s_or_b32 exec_lo, exec_lo, s40
	v_mov_b32_e32 v2, 0
	s_and_saveexec_b32 s40, s37
.LBB22_85:
	v_lshrrev_b32_e32 v2, 24, v1
	v_and_or_b32 v2, 0x80, v2, v0
.LBB22_86:
	s_or_b32 exec_lo, exec_lo, s40
.LBB22_87:
	s_or_b32 exec_lo, exec_lo, s36
	global_store_byte v[3:4], v2, off
.LBB22_88:
	s_mov_b32 s36, -1
.LBB22_89:
	s_mov_b32 s37, 0
.LBB22_90:
	s_and_b32 vcc_lo, exec_lo, s37
	s_cbranch_vccz .LBB22_131
; %bb.91:
	s_cmp_gt_i32 s2, 22
	s_mov_b32 s37, -1
	s_cbranch_scc0 .LBB22_123
; %bb.92:
	s_cmp_lt_i32 s2, 24
	s_mov_b32 s36, -1
	s_cbranch_scc1 .LBB22_112
; %bb.93:
	s_cmp_gt_i32 s2, 24
	s_cbranch_scc0 .LBB22_101
; %bb.94:
	v_and_b32_e32 v0, 0x7fffffff, v1
	v_mov_b32_e32 v2, 0x80
	s_mov_b32 s36, exec_lo
	v_cmpx_gt_u32_e32 0x47800000, v0
	s_cbranch_execz .LBB22_100
; %bb.95:
	v_cmp_lt_u32_e32 vcc_lo, 0x37ffffff, v0
	s_mov_b32 s37, 0
                                        ; implicit-def: $vgpr0
	s_and_saveexec_b32 s40, vcc_lo
	s_xor_b32 s40, exec_lo, s40
	s_cbranch_execz .LBB22_343
; %bb.96:
	v_bfe_u32 v0, v1, 21, 1
	s_mov_b32 s37, exec_lo
	v_add3_u32 v0, v1, v0, 0x88fffff
	v_lshrrev_b32_e32 v0, 21, v0
	s_andn2_saveexec_b32 s40, s40
	s_cbranch_execnz .LBB22_344
.LBB22_97:
	s_or_b32 exec_lo, exec_lo, s40
	v_mov_b32_e32 v2, 0
	s_and_saveexec_b32 s40, s37
.LBB22_98:
	v_lshrrev_b32_e32 v2, 24, v1
	v_and_or_b32 v2, 0x80, v2, v0
.LBB22_99:
	s_or_b32 exec_lo, exec_lo, s40
.LBB22_100:
	s_or_b32 exec_lo, exec_lo, s36
	s_mov_b32 s36, 0
	global_store_byte v[3:4], v2, off
.LBB22_101:
	s_and_b32 vcc_lo, exec_lo, s36
	s_cbranch_vccz .LBB22_111
; %bb.102:
	v_and_b32_e32 v2, 0x7fffffff, v1
	s_mov_b32 s36, exec_lo
                                        ; implicit-def: $vgpr0
	v_cmpx_gt_u32_e32 0x43f00000, v2
	s_xor_b32 s36, exec_lo, s36
	s_cbranch_execz .LBB22_108
; %bb.103:
	s_mov_b32 s37, exec_lo
                                        ; implicit-def: $vgpr0
	v_cmpx_lt_u32_e32 0x3c7fffff, v2
	s_xor_b32 s37, exec_lo, s37
; %bb.104:
	v_bfe_u32 v0, v1, 20, 1
	v_add3_u32 v0, v1, v0, 0x407ffff
	v_and_b32_e32 v2, 0xff00000, v0
	v_lshrrev_b32_e32 v0, 20, v0
	v_cmp_ne_u32_e32 vcc_lo, 0x7f00000, v2
	v_cndmask_b32_e32 v0, 0x7e, v0, vcc_lo
; %bb.105:
	s_andn2_saveexec_b32 s37, s37
; %bb.106:
	v_add_f32_e64 v0, 0x46800000, |v1|
; %bb.107:
	s_or_b32 exec_lo, exec_lo, s37
                                        ; implicit-def: $vgpr2
.LBB22_108:
	s_andn2_saveexec_b32 s36, s36
; %bb.109:
	v_mov_b32_e32 v0, 0x7f
	v_cmp_lt_u32_e32 vcc_lo, 0x7f800000, v2
	v_cndmask_b32_e32 v0, 0x7e, v0, vcc_lo
; %bb.110:
	s_or_b32 exec_lo, exec_lo, s36
	v_lshrrev_b32_e32 v2, 24, v1
	v_and_or_b32 v0, 0x80, v2, v0
	global_store_byte v[3:4], v0, off
.LBB22_111:
	s_mov_b32 s36, 0
.LBB22_112:
	s_andn2_b32 vcc_lo, exec_lo, s36
	s_cbranch_vccnz .LBB22_122
; %bb.113:
	v_and_b32_e32 v2, 0x7fffffff, v1
	s_mov_b32 s36, exec_lo
                                        ; implicit-def: $vgpr0
	v_cmpx_gt_u32_e32 0x47800000, v2
	s_xor_b32 s36, exec_lo, s36
	s_cbranch_execz .LBB22_119
; %bb.114:
	s_mov_b32 s37, exec_lo
                                        ; implicit-def: $vgpr0
	v_cmpx_lt_u32_e32 0x387fffff, v2
	s_xor_b32 s37, exec_lo, s37
; %bb.115:
	v_bfe_u32 v0, v1, 21, 1
	v_add3_u32 v0, v1, v0, 0x80fffff
	v_lshrrev_b32_e32 v0, 21, v0
; %bb.116:
	s_andn2_saveexec_b32 s37, s37
; %bb.117:
	v_add_f32_e64 v0, 0x43000000, |v1|
; %bb.118:
	s_or_b32 exec_lo, exec_lo, s37
                                        ; implicit-def: $vgpr2
.LBB22_119:
	s_andn2_saveexec_b32 s36, s36
; %bb.120:
	v_mov_b32_e32 v0, 0x7f
	v_cmp_lt_u32_e32 vcc_lo, 0x7f800000, v2
	v_cndmask_b32_e32 v0, 0x7c, v0, vcc_lo
; %bb.121:
	s_or_b32 exec_lo, exec_lo, s36
	v_lshrrev_b32_e32 v2, 24, v1
	v_and_or_b32 v0, 0x80, v2, v0
	global_store_byte v[3:4], v0, off
.LBB22_122:
	s_mov_b32 s37, 0
	s_mov_b32 s36, -1
.LBB22_123:
	s_andn2_b32 vcc_lo, exec_lo, s37
	s_cbranch_vccnz .LBB22_131
; %bb.124:
	s_cmp_gt_i32 s2, 14
	s_mov_b32 s37, -1
	s_cbranch_scc0 .LBB22_128
; %bb.125:
	s_cmp_eq_u32 s2, 15
	s_mov_b32 s0, -1
	s_cbranch_scc0 .LBB22_127
; %bb.126:
	v_bfe_u32 v0, v1, 16, 1
	v_cmp_o_f32_e32 vcc_lo, v1, v1
	v_mov_b32_e32 v2, 0x7fc0
	s_mov_b32 s36, -1
	s_mov_b32 s0, 0
	v_add3_u32 v0, v1, v0, 0x7fff
	v_cndmask_b32_sdwa v0, v2, v0, vcc_lo dst_sel:DWORD dst_unused:UNUSED_PAD src0_sel:DWORD src1_sel:WORD_1
	global_store_short v[3:4], v0, off
.LBB22_127:
	s_mov_b32 s37, 0
.LBB22_128:
	s_and_b32 vcc_lo, exec_lo, s37
	s_cbranch_vccz .LBB22_131
; %bb.129:
	s_cmp_eq_u32 s2, 11
	s_mov_b32 s0, -1
	s_cbranch_scc0 .LBB22_131
; %bb.130:
	v_cmp_neq_f32_e32 vcc_lo, 0, v1
	s_mov_b32 s0, 0
	s_mov_b32 s36, -1
	v_cndmask_b32_e64 v0, 0, 1, vcc_lo
	global_store_byte v[3:4], v0, off
.LBB22_131:
	s_branch .LBB22_50
.LBB22_132:
	s_and_b32 s1, 0xffff, s1
	s_mov_b32 s2, -1
	s_cmp_lt_i32 s1, 5
	s_cbranch_scc1 .LBB22_153
; %bb.133:
	s_cmp_lt_i32 s1, 8
	s_cbranch_scc1 .LBB22_143
; %bb.134:
	;; [unrolled: 3-line block ×3, first 2 shown]
	s_cmp_gt_i32 s1, 9
	s_cbranch_scc0 .LBB22_137
; %bb.136:
	v_cvt_f64_f32_e32 v[9:10], v1
	v_mov_b32_e32 v11, 0
	s_mov_b32 s2, 0
	v_mov_b32_e32 v12, v11
	global_store_dwordx4 v[3:4], v[9:12], off
.LBB22_137:
	s_andn2_b32 vcc_lo, exec_lo, s2
	s_cbranch_vccnz .LBB22_139
; %bb.138:
	v_mov_b32_e32 v2, 0
	global_store_dwordx2 v[3:4], v[1:2], off
.LBB22_139:
	s_mov_b32 s2, 0
.LBB22_140:
	s_andn2_b32 vcc_lo, exec_lo, s2
	s_cbranch_vccnz .LBB22_142
; %bb.141:
	v_cvt_f16_f32_e32 v0, v1
	v_and_b32_e32 v0, 0xffff, v0
	global_store_dword v[3:4], v0, off
.LBB22_142:
	s_mov_b32 s2, 0
.LBB22_143:
	s_andn2_b32 vcc_lo, exec_lo, s2
	s_cbranch_vccnz .LBB22_152
; %bb.144:
	s_cmp_lt_i32 s1, 6
	s_mov_b32 s2, -1
	s_cbranch_scc1 .LBB22_150
; %bb.145:
	s_cmp_gt_i32 s1, 6
	s_cbranch_scc0 .LBB22_147
; %bb.146:
	v_cvt_f64_f32_e32 v[5:6], v1
	s_mov_b32 s2, 0
	global_store_dwordx2 v[3:4], v[5:6], off
.LBB22_147:
	s_andn2_b32 vcc_lo, exec_lo, s2
	s_cbranch_vccnz .LBB22_149
; %bb.148:
	global_store_dword v[3:4], v1, off
.LBB22_149:
	s_mov_b32 s2, 0
.LBB22_150:
	s_andn2_b32 vcc_lo, exec_lo, s2
	s_cbranch_vccnz .LBB22_152
; %bb.151:
	v_cvt_f16_f32_e32 v0, v1
	global_store_short v[3:4], v0, off
.LBB22_152:
	s_mov_b32 s2, 0
.LBB22_153:
	s_andn2_b32 vcc_lo, exec_lo, s2
	s_cbranch_vccnz .LBB22_169
; %bb.154:
	s_cmp_lt_i32 s1, 2
	s_mov_b32 s2, -1
	s_cbranch_scc1 .LBB22_164
; %bb.155:
	s_cmp_lt_i32 s1, 3
	s_cbranch_scc1 .LBB22_161
; %bb.156:
	s_cmp_gt_i32 s1, 3
	s_cbranch_scc0 .LBB22_158
; %bb.157:
	v_trunc_f32_e32 v0, v1
	s_mov_b32 s2, 0
	v_mul_f32_e64 v2, 0x2f800000, |v0|
	v_floor_f32_e32 v2, v2
	v_fma_f32 v5, 0xcf800000, v2, |v0|
	v_ashrrev_i32_e32 v0, 31, v0
	v_cvt_u32_f32_e32 v2, v2
	v_cvt_u32_f32_e32 v5, v5
	v_xor_b32_e32 v2, v2, v0
	v_xor_b32_e32 v5, v5, v0
	v_sub_co_u32 v5, vcc_lo, v5, v0
	v_sub_co_ci_u32_e64 v6, null, v2, v0, vcc_lo
	global_store_dwordx2 v[3:4], v[5:6], off
.LBB22_158:
	s_andn2_b32 vcc_lo, exec_lo, s2
	s_cbranch_vccnz .LBB22_160
; %bb.159:
	v_cvt_i32_f32_e32 v0, v1
	global_store_dword v[3:4], v0, off
.LBB22_160:
	s_mov_b32 s2, 0
.LBB22_161:
	s_andn2_b32 vcc_lo, exec_lo, s2
	s_cbranch_vccnz .LBB22_163
; %bb.162:
	v_cvt_i32_f32_e32 v0, v1
	global_store_short v[3:4], v0, off
.LBB22_163:
	s_mov_b32 s2, 0
.LBB22_164:
	s_andn2_b32 vcc_lo, exec_lo, s2
	s_cbranch_vccnz .LBB22_169
; %bb.165:
	s_cmp_gt_i32 s1, 0
	s_mov_b32 s1, -1
	s_cbranch_scc0 .LBB22_167
; %bb.166:
	v_cvt_i32_f32_e32 v0, v1
	s_mov_b32 s1, 0
	global_store_byte v[3:4], v0, off
.LBB22_167:
	s_andn2_b32 vcc_lo, exec_lo, s1
	s_cbranch_vccnz .LBB22_169
; %bb.168:
	v_trunc_f32_e32 v0, v1
	v_mul_f32_e64 v1, 0x2f800000, |v0|
	v_floor_f32_e32 v1, v1
	v_fma_f32 v1, 0xcf800000, v1, |v0|
	v_ashrrev_i32_e32 v0, 31, v0
	v_cvt_u32_f32_e32 v1, v1
	v_xor_b32_e32 v1, v1, v0
	v_sub_nc_u32_e32 v0, v1, v0
	global_store_byte v[3:4], v0, off
.LBB22_169:
.LBB22_170:
	v_add_nc_u32_e32 v8, 0x80, v8
	s_mov_b32 s1, -1
	s_branch .LBB22_281
.LBB22_171:
	s_mov_b32 s3, -1
                                        ; implicit-def: $vgpr3
.LBB22_172:
	s_mov_b32 s2, 0
.LBB22_173:
	s_and_b32 vcc_lo, exec_lo, s2
	s_cbranch_vccz .LBB22_177
; %bb.174:
	s_cmp_eq_u32 s0, 29
	s_cbranch_scc0 .LBB22_176
; %bb.175:
	global_load_dwordx2 v[3:4], v[1:2], off
	s_mov_b32 s1, -1
	s_mov_b32 s3, 0
	s_mov_b32 s2, 0
	s_waitcnt vmcnt(0)
	v_ffbh_u32_e32 v5, v4
	v_min_u32_e32 v5, 32, v5
	v_lshlrev_b64 v[3:4], v5, v[3:4]
	v_min_u32_e32 v3, 1, v3
	v_or_b32_e32 v3, v4, v3
	v_sub_nc_u32_e32 v4, 32, v5
	v_cvt_f32_u32_e32 v3, v3
	v_ldexp_f32 v3, v3, v4
	s_branch .LBB22_178
.LBB22_176:
	s_mov_b32 s3, -1
                                        ; implicit-def: $vgpr3
.LBB22_177:
	s_mov_b32 s2, 0
.LBB22_178:
	s_and_b32 vcc_lo, exec_lo, s2
	s_cbranch_vccz .LBB22_196
; %bb.179:
	s_cmp_lt_i32 s0, 27
	s_cbranch_scc1 .LBB22_182
; %bb.180:
	s_cmp_gt_i32 s0, 27
	s_cbranch_scc0 .LBB22_183
; %bb.181:
	global_load_dword v3, v[1:2], off
	s_mov_b32 s1, 0
	s_waitcnt vmcnt(0)
	v_cvt_f32_u32_e32 v3, v3
	s_branch .LBB22_184
.LBB22_182:
	s_mov_b32 s1, -1
                                        ; implicit-def: $vgpr3
	s_branch .LBB22_187
.LBB22_183:
	s_mov_b32 s1, -1
                                        ; implicit-def: $vgpr3
.LBB22_184:
	s_andn2_b32 vcc_lo, exec_lo, s1
	s_cbranch_vccnz .LBB22_186
; %bb.185:
	global_load_ushort v3, v[1:2], off
	s_waitcnt vmcnt(0)
	v_cvt_f32_u32_e32 v3, v3
.LBB22_186:
	s_mov_b32 s1, 0
.LBB22_187:
	s_andn2_b32 vcc_lo, exec_lo, s1
	s_cbranch_vccnz .LBB22_195
; %bb.188:
	global_load_ubyte v4, v[1:2], off
	s_mov_b32 s1, 0
	s_mov_b32 s2, exec_lo
	s_waitcnt vmcnt(0)
	v_cmpx_lt_i16_e32 0x7f, v4
	s_xor_b32 s2, exec_lo, s2
	s_cbranch_execz .LBB22_208
; %bb.189:
	s_mov_b32 s1, -1
	s_mov_b32 s36, exec_lo
	v_cmpx_eq_u16_e32 0x80, v4
; %bb.190:
	s_xor_b32 s1, exec_lo, -1
; %bb.191:
	s_or_b32 exec_lo, exec_lo, s36
	s_and_b32 s1, s1, exec_lo
	s_or_saveexec_b32 s2, s2
	v_mov_b32_e32 v3, 0x7f800001
	s_xor_b32 exec_lo, exec_lo, s2
	s_cbranch_execnz .LBB22_209
.LBB22_192:
	s_or_b32 exec_lo, exec_lo, s2
	s_and_saveexec_b32 s2, s1
	s_cbranch_execz .LBB22_194
.LBB22_193:
	v_and_b32_e32 v3, 0xffff, v4
	v_lshlrev_b32_e32 v4, 24, v4
	v_and_b32_e32 v5, 7, v3
	v_bfe_u32 v9, v3, 3, 4
	v_and_b32_e32 v4, 0x80000000, v4
	v_ffbh_u32_e32 v6, v5
	v_cmp_eq_u32_e32 vcc_lo, 0, v9
	v_min_u32_e32 v6, 32, v6
	v_subrev_nc_u32_e32 v7, 28, v6
	v_sub_nc_u32_e32 v6, 29, v6
	v_lshlrev_b32_e32 v3, v7, v3
	v_cndmask_b32_e32 v6, v9, v6, vcc_lo
	v_and_b32_e32 v3, 7, v3
	v_cndmask_b32_e32 v3, v5, v3, vcc_lo
	v_lshl_add_u32 v5, v6, 23, 0x3b800000
	v_lshlrev_b32_e32 v3, 20, v3
	v_or3_b32 v3, v4, v5, v3
.LBB22_194:
	s_or_b32 exec_lo, exec_lo, s2
.LBB22_195:
	s_mov_b32 s1, -1
.LBB22_196:
	s_branch .LBB22_231
.LBB22_197:
	s_cmp_gt_i32 s0, 22
	s_cbranch_scc0 .LBB22_207
; %bb.198:
	s_cmp_lt_i32 s0, 24
	s_cbranch_scc1 .LBB22_210
; %bb.199:
	s_cmp_gt_i32 s0, 24
	s_cbranch_scc0 .LBB22_211
; %bb.200:
	global_load_ubyte v4, v[1:2], off
	s_mov_b32 s1, 0
	s_mov_b32 s2, exec_lo
	s_waitcnt vmcnt(0)
	v_cmpx_lt_i16_e32 0x7f, v4
	s_xor_b32 s2, exec_lo, s2
	s_cbranch_execz .LBB22_223
; %bb.201:
	s_mov_b32 s1, -1
	s_mov_b32 s36, exec_lo
	v_cmpx_eq_u16_e32 0x80, v4
; %bb.202:
	s_xor_b32 s1, exec_lo, -1
; %bb.203:
	s_or_b32 exec_lo, exec_lo, s36
	s_and_b32 s1, s1, exec_lo
	s_or_saveexec_b32 s2, s2
	v_mov_b32_e32 v3, 0x7f800001
	s_xor_b32 exec_lo, exec_lo, s2
	s_cbranch_execnz .LBB22_224
.LBB22_204:
	s_or_b32 exec_lo, exec_lo, s2
	s_and_saveexec_b32 s2, s1
	s_cbranch_execz .LBB22_206
.LBB22_205:
	v_and_b32_e32 v3, 0xffff, v4
	v_lshlrev_b32_e32 v4, 24, v4
	v_and_b32_e32 v5, 3, v3
	v_bfe_u32 v9, v3, 2, 5
	v_and_b32_e32 v4, 0x80000000, v4
	v_ffbh_u32_e32 v6, v5
	v_cmp_eq_u32_e32 vcc_lo, 0, v9
	v_min_u32_e32 v6, 32, v6
	v_subrev_nc_u32_e32 v7, 29, v6
	v_sub_nc_u32_e32 v6, 30, v6
	v_lshlrev_b32_e32 v3, v7, v3
	v_cndmask_b32_e32 v6, v9, v6, vcc_lo
	v_and_b32_e32 v3, 3, v3
	v_cndmask_b32_e32 v3, v5, v3, vcc_lo
	v_lshl_add_u32 v5, v6, 23, 0x37800000
	v_lshlrev_b32_e32 v3, 21, v3
	v_or3_b32 v3, v4, v5, v3
.LBB22_206:
	s_or_b32 exec_lo, exec_lo, s2
	s_mov_b32 s1, 0
	s_branch .LBB22_212
.LBB22_207:
	s_mov_b32 s2, -1
                                        ; implicit-def: $vgpr3
	s_branch .LBB22_218
.LBB22_208:
	s_or_saveexec_b32 s2, s2
	v_mov_b32_e32 v3, 0x7f800001
	s_xor_b32 exec_lo, exec_lo, s2
	s_cbranch_execz .LBB22_192
.LBB22_209:
	v_cmp_ne_u16_e32 vcc_lo, 0, v4
	v_mov_b32_e32 v3, 0
	s_andn2_b32 s1, s1, exec_lo
	s_and_b32 s36, vcc_lo, exec_lo
	s_or_b32 s1, s1, s36
	s_or_b32 exec_lo, exec_lo, s2
	s_and_saveexec_b32 s2, s1
	s_cbranch_execnz .LBB22_193
	s_branch .LBB22_194
.LBB22_210:
	s_mov_b32 s1, -1
                                        ; implicit-def: $vgpr3
	s_branch .LBB22_215
.LBB22_211:
	s_mov_b32 s1, -1
                                        ; implicit-def: $vgpr3
.LBB22_212:
	s_and_b32 vcc_lo, exec_lo, s1
	s_cbranch_vccz .LBB22_214
; %bb.213:
	global_load_ubyte v3, v[1:2], off
	s_waitcnt vmcnt(0)
	v_lshlrev_b32_e32 v3, 24, v3
	v_and_b32_e32 v4, 0x7f000000, v3
	v_ffbh_u32_e32 v5, v4
	v_add_nc_u32_e32 v7, 0x1000000, v4
	v_cmp_ne_u32_e32 vcc_lo, 0, v4
	v_min_u32_e32 v5, 32, v5
	v_sub_nc_u32_e64 v5, v5, 4 clamp
	v_lshlrev_b32_e32 v6, v5, v4
	v_lshlrev_b32_e32 v5, 23, v5
	v_lshrrev_b32_e32 v6, 4, v6
	v_sub_nc_u32_e32 v5, v6, v5
	v_ashrrev_i32_e32 v6, 8, v7
	v_add_nc_u32_e32 v5, 0x3c000000, v5
	v_and_or_b32 v5, 0x7f800000, v6, v5
	v_cndmask_b32_e32 v4, 0, v5, vcc_lo
	v_and_or_b32 v3, 0x80000000, v3, v4
.LBB22_214:
	s_mov_b32 s1, 0
.LBB22_215:
	s_andn2_b32 vcc_lo, exec_lo, s1
	s_cbranch_vccnz .LBB22_217
; %bb.216:
	global_load_ubyte v3, v[1:2], off
	s_waitcnt vmcnt(0)
	v_lshlrev_b32_e32 v4, 25, v3
	v_lshlrev_b16 v3, 8, v3
	v_lshrrev_b32_e32 v5, 4, v4
	v_and_or_b32 v6, 0x7f00, v3, 0.5
	v_cmp_gt_u32_e32 vcc_lo, 0x8000000, v4
	v_bfe_i32 v3, v3, 0, 16
	v_or_b32_e32 v5, 0x70000000, v5
	v_add_f32_e32 v6, -0.5, v6
	v_mul_f32_e32 v5, 0x7800000, v5
	v_cndmask_b32_e32 v4, v5, v6, vcc_lo
	v_and_or_b32 v3, 0x80000000, v3, v4
.LBB22_217:
	s_mov_b32 s2, 0
	s_mov_b32 s1, -1
.LBB22_218:
	s_andn2_b32 vcc_lo, exec_lo, s2
	s_cbranch_vccnz .LBB22_231
; %bb.219:
	s_cmp_gt_i32 s0, 14
	s_cbranch_scc0 .LBB22_222
; %bb.220:
	s_cmp_eq_u32 s0, 15
	s_cbranch_scc0 .LBB22_225
; %bb.221:
	global_load_ushort v3, v[1:2], off
	s_mov_b32 s1, -1
	s_mov_b32 s3, 0
	s_waitcnt vmcnt(0)
	v_lshlrev_b32_e32 v3, 16, v3
	s_branch .LBB22_226
.LBB22_222:
	s_mov_b32 s2, -1
                                        ; implicit-def: $vgpr3
	s_branch .LBB22_227
.LBB22_223:
	s_or_saveexec_b32 s2, s2
	v_mov_b32_e32 v3, 0x7f800001
	s_xor_b32 exec_lo, exec_lo, s2
	s_cbranch_execz .LBB22_204
.LBB22_224:
	v_cmp_ne_u16_e32 vcc_lo, 0, v4
	v_mov_b32_e32 v3, 0
	s_andn2_b32 s1, s1, exec_lo
	s_and_b32 s36, vcc_lo, exec_lo
	s_or_b32 s1, s1, s36
	s_or_b32 exec_lo, exec_lo, s2
	s_and_saveexec_b32 s2, s1
	s_cbranch_execnz .LBB22_205
	s_branch .LBB22_206
.LBB22_225:
	s_mov_b32 s3, -1
                                        ; implicit-def: $vgpr3
.LBB22_226:
	s_mov_b32 s2, 0
.LBB22_227:
	s_and_b32 vcc_lo, exec_lo, s2
	s_cbranch_vccz .LBB22_231
; %bb.228:
	s_cmp_eq_u32 s0, 11
	s_cbranch_scc0 .LBB22_230
; %bb.229:
	global_load_ubyte v3, v[1:2], off
	s_mov_b32 s3, 0
	s_mov_b32 s1, -1
	s_waitcnt vmcnt(0)
	v_cmp_ne_u16_e32 vcc_lo, 0, v3
	v_cndmask_b32_e64 v3, 0, 1.0, vcc_lo
	s_branch .LBB22_231
.LBB22_230:
	s_mov_b32 s3, -1
                                        ; implicit-def: $vgpr3
.LBB22_231:
	s_branch .LBB22_24
.LBB22_232:
	s_cmp_lt_i32 s0, 5
	s_cbranch_scc1 .LBB22_237
; %bb.233:
	s_cmp_lt_i32 s0, 8
	s_cbranch_scc1 .LBB22_238
; %bb.234:
	;; [unrolled: 3-line block ×3, first 2 shown]
	s_cmp_gt_i32 s0, 9
	s_cbranch_scc0 .LBB22_240
; %bb.236:
	global_load_dwordx2 v[3:4], v[1:2], off
	s_mov_b32 s1, 0
	s_waitcnt vmcnt(0)
	v_cvt_f32_f64_e32 v3, v[3:4]
	s_branch .LBB22_241
.LBB22_237:
                                        ; implicit-def: $vgpr3
	s_branch .LBB22_259
.LBB22_238:
	s_mov_b32 s1, -1
                                        ; implicit-def: $vgpr3
	s_branch .LBB22_247
.LBB22_239:
	s_mov_b32 s1, -1
                                        ; implicit-def: $vgpr3
	s_branch .LBB22_244
.LBB22_240:
	s_mov_b32 s1, -1
                                        ; implicit-def: $vgpr3
.LBB22_241:
	s_andn2_b32 vcc_lo, exec_lo, s1
	s_cbranch_vccnz .LBB22_243
; %bb.242:
	global_load_dword v3, v[1:2], off
.LBB22_243:
	s_mov_b32 s1, 0
.LBB22_244:
	s_andn2_b32 vcc_lo, exec_lo, s1
	s_cbranch_vccnz .LBB22_246
; %bb.245:
	global_load_dword v3, v[1:2], off
	s_waitcnt vmcnt(0)
	v_cvt_f32_f16_e32 v3, v3
.LBB22_246:
	s_mov_b32 s1, 0
.LBB22_247:
	s_andn2_b32 vcc_lo, exec_lo, s1
	s_cbranch_vccnz .LBB22_258
; %bb.248:
	s_cmp_lt_i32 s0, 6
	s_cbranch_scc1 .LBB22_251
; %bb.249:
	s_cmp_gt_i32 s0, 6
	s_cbranch_scc0 .LBB22_252
; %bb.250:
	global_load_dwordx2 v[3:4], v[1:2], off
	s_mov_b32 s1, 0
	s_waitcnt vmcnt(0)
	v_cvt_f32_f64_e32 v3, v[3:4]
	s_branch .LBB22_253
.LBB22_251:
	s_mov_b32 s1, -1
                                        ; implicit-def: $vgpr3
	s_branch .LBB22_256
.LBB22_252:
	s_mov_b32 s1, -1
                                        ; implicit-def: $vgpr3
.LBB22_253:
	s_andn2_b32 vcc_lo, exec_lo, s1
	s_cbranch_vccnz .LBB22_255
; %bb.254:
	global_load_dword v3, v[1:2], off
.LBB22_255:
	s_mov_b32 s1, 0
.LBB22_256:
	s_andn2_b32 vcc_lo, exec_lo, s1
	s_cbranch_vccnz .LBB22_258
; %bb.257:
	global_load_ushort v3, v[1:2], off
	s_waitcnt vmcnt(0)
	v_cvt_f32_f16_e32 v3, v3
.LBB22_258:
	s_cbranch_execnz .LBB22_278
.LBB22_259:
	s_cmp_lt_i32 s0, 2
	s_cbranch_scc1 .LBB22_263
; %bb.260:
	s_cmp_lt_i32 s0, 3
	s_cbranch_scc1 .LBB22_264
; %bb.261:
	s_cmp_gt_i32 s0, 3
	s_cbranch_scc0 .LBB22_265
; %bb.262:
	global_load_dwordx2 v[3:4], v[1:2], off
	s_mov_b32 s1, 0
	s_waitcnt vmcnt(0)
	v_xor_b32_e32 v5, v3, v4
	v_ffbh_i32_e32 v6, v4
	v_ashrrev_i32_e32 v5, 31, v5
	v_add_nc_u32_e32 v6, -1, v6
	v_add_nc_u32_e32 v5, 32, v5
	v_min_u32_e32 v5, v6, v5
	v_lshlrev_b64 v[3:4], v5, v[3:4]
	v_min_u32_e32 v3, 1, v3
	v_or_b32_e32 v3, v4, v3
	v_sub_nc_u32_e32 v4, 32, v5
	v_cvt_f32_i32_e32 v3, v3
	v_ldexp_f32 v3, v3, v4
	s_branch .LBB22_266
.LBB22_263:
	s_mov_b32 s1, -1
                                        ; implicit-def: $vgpr3
	s_branch .LBB22_272
.LBB22_264:
	s_mov_b32 s1, -1
                                        ; implicit-def: $vgpr3
	s_branch .LBB22_269
.LBB22_265:
	s_mov_b32 s1, -1
                                        ; implicit-def: $vgpr3
.LBB22_266:
	s_andn2_b32 vcc_lo, exec_lo, s1
	s_cbranch_vccnz .LBB22_268
; %bb.267:
	global_load_dword v3, v[1:2], off
	s_waitcnt vmcnt(0)
	v_cvt_f32_i32_e32 v3, v3
.LBB22_268:
	s_mov_b32 s1, 0
.LBB22_269:
	s_andn2_b32 vcc_lo, exec_lo, s1
	s_cbranch_vccnz .LBB22_271
; %bb.270:
	global_load_sshort v3, v[1:2], off
	s_waitcnt vmcnt(0)
	v_cvt_f32_i32_e32 v3, v3
.LBB22_271:
	s_mov_b32 s1, 0
.LBB22_272:
	s_andn2_b32 vcc_lo, exec_lo, s1
	s_cbranch_vccnz .LBB22_278
; %bb.273:
	s_cmp_gt_i32 s0, 0
	s_mov_b32 s0, 0
	s_cbranch_scc0 .LBB22_275
; %bb.274:
	global_load_sbyte v3, v[1:2], off
	s_waitcnt vmcnt(0)
	v_cvt_f32_i32_e32 v3, v3
	s_branch .LBB22_276
.LBB22_275:
	s_mov_b32 s0, -1
                                        ; implicit-def: $vgpr3
.LBB22_276:
	s_andn2_b32 vcc_lo, exec_lo, s0
	s_cbranch_vccnz .LBB22_278
; %bb.277:
	global_load_ubyte v1, v[1:2], off
	s_waitcnt vmcnt(0)
	v_cvt_f32_ubyte0_e32 v3, v1
.LBB22_278:
	s_branch .LBB22_25
.LBB22_279:
	s_mov_b32 s0, 0
.LBB22_280:
	s_mov_b32 s1, 0
                                        ; implicit-def: $vgpr8
.LBB22_281:
	s_and_b32 s36, s0, exec_lo
	s_and_b32 s37, s3, exec_lo
	s_orn2_b32 s1, s1, exec_lo
.LBB22_282:
	s_or_b32 exec_lo, exec_lo, s38
	s_mov_b32 s2, 0
	s_mov_b32 s0, 0
                                        ; implicit-def: $vgpr1_vgpr2
                                        ; implicit-def: $vgpr0
                                        ; implicit-def: $vgpr5
	s_and_saveexec_b32 s38, s1
	s_cbranch_execz .LBB22_289
; %bb.283:
	s_mov_b32 s0, -1
	s_mov_b32 s39, s37
	s_mov_b32 s40, s36
	s_mov_b32 s41, exec_lo
	v_cmpx_gt_i32_e64 s33, v8
	s_cbranch_execz .LBB22_575
; %bb.284:
	s_andn2_b32 vcc_lo, exec_lo, s27
	s_cbranch_vccnz .LBB22_292
; %bb.285:
	s_andn2_b32 vcc_lo, exec_lo, s34
	s_cbranch_vccnz .LBB22_293
; %bb.286:
	s_add_i32 s40, s35, 1
	s_cmp_eq_u32 s25, 2
	s_cbranch_scc1 .LBB22_294
; %bb.287:
	v_mov_b32_e32 v2, 0
	v_mov_b32_e32 v0, 0
	;; [unrolled: 1-line block ×3, first 2 shown]
	s_and_b32 s39, s40, 28
	s_mov_b32 s42, 0
	s_mov_b64 s[0:1], s[6:7]
	s_mov_b64 s[2:3], s[22:23]
.LBB22_288:                             ; =>This Inner Loop Header: Depth=1
	s_clause 0x1
	s_load_dwordx8 s[44:51], s[0:1], 0x4
	s_load_dwordx4 s[60:63], s[0:1], 0x24
	s_load_dwordx8 s[52:59], s[2:3], 0x0
	s_add_u32 s0, s0, 48
	s_addc_u32 s1, s1, 0
	s_add_i32 s42, s42, 4
	s_add_u32 s2, s2, 32
	s_addc_u32 s3, s3, 0
	s_cmp_eq_u32 s39, s42
	s_waitcnt vmcnt(0) lgkmcnt(0)
	v_mul_hi_u32 v3, s45, v1
	v_add_nc_u32_e32 v3, v1, v3
	v_lshrrev_b32_e32 v3, s46, v3
	v_mul_hi_u32 v4, s48, v3
	v_mul_lo_u32 v6, v3, s44
	v_add_nc_u32_e32 v4, v3, v4
	v_sub_nc_u32_e32 v1, v1, v6
	v_lshrrev_b32_e32 v4, s49, v4
	v_mul_lo_u32 v6, v1, s52
	v_mul_lo_u32 v9, v1, s53
	v_mul_hi_u32 v5, s51, v4
	v_add_nc_u32_e32 v5, v4, v5
	v_lshrrev_b32_e32 v5, s60, v5
	v_mul_hi_u32 v7, s62, v5
	v_mul_lo_u32 v10, v5, s50
	v_add_nc_u32_e32 v1, v5, v7
	v_mul_lo_u32 v7, v4, s47
	v_sub_nc_u32_e32 v4, v4, v10
	v_lshrrev_b32_e32 v1, s63, v1
	v_mul_lo_u32 v10, v4, s56
	v_mul_lo_u32 v4, v4, s57
	v_sub_nc_u32_e32 v3, v3, v7
	v_mul_lo_u32 v11, v1, s61
	v_mul_lo_u32 v7, v3, s54
	;; [unrolled: 1-line block ×3, first 2 shown]
	v_sub_nc_u32_e32 v5, v5, v11
	v_add3_u32 v0, v6, v0, v7
	v_mul_lo_u32 v11, v5, s58
	v_mul_lo_u32 v5, v5, s59
	v_add3_u32 v2, v9, v2, v3
	v_add3_u32 v0, v10, v0, v11
	;; [unrolled: 1-line block ×3, first 2 shown]
	s_cbranch_scc0 .LBB22_288
	s_branch .LBB22_295
.LBB22_289:
	s_or_b32 exec_lo, exec_lo, s38
	s_mov_b32 s3, 0
	s_and_saveexec_b32 s1, s37
	s_cbranch_execnz .LBB22_969
.LBB22_290:
	s_or_b32 exec_lo, exec_lo, s1
	s_and_saveexec_b32 s1, s39
	s_xor_b32 s1, exec_lo, s1
	s_cbranch_execz .LBB22_970
.LBB22_291:
	global_load_ubyte v3, v[1:2], off
	s_or_b32 s0, s0, exec_lo
	s_waitcnt vmcnt(0)
	v_cmp_ne_u16_e32 vcc_lo, 0, v3
	v_cndmask_b32_e64 v5, 0, 1.0, vcc_lo
	s_or_b32 exec_lo, exec_lo, s1
	s_and_saveexec_b32 s1, s2
	s_cbranch_execz .LBB22_1016
	s_branch .LBB22_971
.LBB22_292:
                                        ; implicit-def: $vgpr0
                                        ; implicit-def: $vgpr2
	s_andn2_b32 vcc_lo, exec_lo, s0
	s_cbranch_vccz .LBB22_299
	s_branch .LBB22_301
.LBB22_293:
	v_mov_b32_e32 v0, 0
	v_mov_b32_e32 v2, 0
	s_branch .LBB22_298
.LBB22_294:
	v_mov_b32_e32 v0, 0
	v_mov_b32_e32 v2, 0
	;; [unrolled: 1-line block ×3, first 2 shown]
	s_mov_b32 s39, 0
.LBB22_295:
	s_and_b32 s40, s40, 3
	s_cmp_eq_u32 s40, 0
	s_cbranch_scc1 .LBB22_298
; %bb.296:
	s_lshl_b32 s0, s39, 3
	s_mul_i32 s2, s39, 12
	s_add_u32 s0, s6, s0
	s_addc_u32 s1, s7, 0
	s_add_u32 s0, s0, 0xc4
	s_addc_u32 s1, s1, 0
	;; [unrolled: 2-line block ×3, first 2 shown]
	.p2align	6
.LBB22_297:                             ; =>This Inner Loop Header: Depth=1
	s_clause 0x1
	s_load_dwordx2 s[42:43], s[2:3], 0x4
	s_load_dword s39, s[2:3], 0xc
	s_load_dwordx2 s[44:45], s[0:1], 0x0
	s_add_u32 s2, s2, 12
	s_addc_u32 s3, s3, 0
	s_add_u32 s0, s0, 8
	s_addc_u32 s1, s1, 0
	s_add_i32 s40, s40, -1
	s_cmp_lg_u32 s40, 0
	s_waitcnt vmcnt(0) lgkmcnt(0)
	v_mul_hi_u32 v3, s43, v1
	v_add_nc_u32_e32 v3, v1, v3
	v_lshrrev_b32_e32 v4, s39, v3
	v_mul_lo_u32 v3, v4, s42
	v_sub_nc_u32_e32 v3, v1, v3
	v_mad_u64_u32 v[0:1], null, v3, s44, v[0:1]
	v_mad_u64_u32 v[2:3], null, v3, s45, v[2:3]
	v_mov_b32_e32 v1, v4
	s_cbranch_scc1 .LBB22_297
.LBB22_298:
	s_cbranch_execnz .LBB22_301
.LBB22_299:
	s_waitcnt lgkmcnt(0)
	v_mul_hi_u32 v0, s17, v8
	s_andn2_b32 vcc_lo, exec_lo, s31
	v_add_nc_u32_e32 v0, v8, v0
	v_lshrrev_b32_e32 v1, s18, v0
	v_mul_lo_u32 v0, v1, s16
	v_sub_nc_u32_e32 v2, v8, v0
	v_mul_lo_u32 v0, v2, s12
	v_mul_lo_u32 v2, v2, s13
	s_cbranch_vccnz .LBB22_301
; %bb.300:
	s_waitcnt vmcnt(0)
	v_mul_hi_u32 v3, s20, v1
	v_add_nc_u32_e32 v3, v1, v3
	v_lshrrev_b32_e32 v3, s21, v3
	v_mul_lo_u32 v3, v3, s19
	v_sub_nc_u32_e32 v3, v1, v3
	v_mad_u64_u32 v[0:1], null, v3, s14, v[0:1]
	v_mad_u64_u32 v[2:3], null, v3, s15, v[2:3]
.LBB22_301:
	s_waitcnt lgkmcnt(0)
	v_add_co_u32 v1, s0, s10, v2
	v_add_co_ci_u32_e64 v2, null, s11, 0, s0
	s_and_b32 s0, 0xffff, s30
	s_cmp_lt_i32 s0, 11
	s_cbranch_scc1 .LBB22_308
; %bb.302:
	s_cmp_gt_i32 s0, 25
	s_cbranch_scc0 .LBB22_319
; %bb.303:
	s_cmp_gt_i32 s0, 28
	s_cbranch_scc0 .LBB22_335
	;; [unrolled: 3-line block ×4, first 2 shown]
; %bb.306:
	s_cmp_eq_u32 s0, 46
	s_mov_b32 s2, 0
	s_cbranch_scc0 .LBB22_345
; %bb.307:
	global_load_dword v3, v[1:2], off
	s_mov_b32 s1, -1
	s_mov_b32 s3, 0
	s_waitcnt vmcnt(0)
	v_lshlrev_b32_e32 v3, 16, v3
	s_branch .LBB22_347
.LBB22_308:
	s_mov_b32 s1, 0
	s_mov_b32 s3, s37
                                        ; implicit-def: $vgpr3
	s_cbranch_execnz .LBB22_524
.LBB22_309:
	s_andn2_b32 vcc_lo, exec_lo, s1
	s_cbranch_vccnz .LBB22_572
.LBB22_310:
                                        ; implicit-def: $vgpr1
	s_mov_b32 s0, exec_lo
	s_waitcnt vmcnt(0)
	v_cmpx_ge_f32_e32 0x40a00000, v3
	s_xor_b32 s39, exec_lo, s0
	s_cbranch_execz .LBB22_316
; %bb.311:
	v_mov_b32_e32 v1, 0xff800000
	s_mov_b32 s40, exec_lo
	v_cmpx_neq_f32_e32 0, v3
	s_cbranch_execz .LBB22_315
; %bb.312:
	v_mov_b32_e32 v1, 0x7fc00000
	s_mov_b32 s42, exec_lo
	v_cmpx_nge_f32_e32 0, v3
	s_cbranch_execz .LBB22_314
; %bb.313:
	v_mul_f32_e32 v1, v3, v3
	v_cmp_gt_f32_e64 s0, 0x800000, v3
	v_div_scale_f32 v12, null, v3, v3, -1.0
	v_div_scale_f32 v21, s2, -1.0, v3, -1.0
	v_fmaak_f32 v2, 0, v1, 0x4414934d
	v_fmaak_f32 v4, 0, v1, 0x441b3589
	;; [unrolled: 1-line block ×4, first 2 shown]
	v_cndmask_b32_e64 v11, 0, 32, s0
	v_fmaak_f32 v2, v1, v2, 0x48660b06
	v_fmaak_f32 v4, v1, v4, 0x487af6d0
	;; [unrolled: 1-line block ×4, first 2 shown]
	v_rcp_f32_e32 v13, v12
	v_fmaak_f32 v2, v1, v2, 0x4c8c277d
	v_fmaak_f32 v4, v1, v4, 0x4c9f4aa7
	v_fmaak_f32 v5, v1, v5, 0x56d04aa6
	v_fmaak_f32 v6, v1, v6, 0xd6845497
	v_ldexp_f32 v11, v3, v11
	v_fmaak_f32 v2, v1, v2, 0x508bc61d
	v_fmaak_f32 v4, v1, v4, 0x50a509fc
	;; [unrolled: 1-line block ×4, first 2 shown]
	v_log_f32_e32 v11, v11
	v_fmaak_f32 v2, v1, v2, 0x5461faf8
	v_fmaak_f32 v4, v1, v4, 0x548a37dc
	v_fmaak_f32 v5, v1, v5, 0x5c33cd68
	v_fma_f32 v18, -v12, v13, 1.0
	v_fmaak_f32 v2, v1, v2, 0x580d1937
	v_fmaak_f32 v4, v1, v4, 0x58325852
	;; [unrolled: 1-line block ×3, first 2 shown]
	v_fmac_f32_e32 v13, v18, v13
	v_mul_f32_e32 v22, 0x3f317217, v11
	v_fmaak_f32 v2, v1, v2, 0x5b741f1e
	v_fmaak_f32 v4, v1, v4, 0x5b9f0600
	v_fma_f32 v18, 0x3f317217, v11, -v22
	v_fmaak_f32 v2, v1, v2, 0x5e5c878d
	v_fmaak_f32 v1, v1, v4, 0x5e93bcac
	v_div_scale_f32 v4, null, v2, v2, v5
	v_div_scale_f32 v7, null, v1, v1, v6
	v_div_scale_f32 v16, vcc_lo, v5, v2, v5
	v_rcp_f32_e32 v9, v4
	v_rcp_f32_e32 v10, v7
	v_div_scale_f32 v17, s1, v6, v1, v6
	v_fma_f32 v14, -v4, v9, 1.0
	v_fma_f32 v15, -v7, v10, 1.0
	v_fmac_f32_e32 v9, v14, v9
	v_fmac_f32_e32 v10, v15, v10
	v_mul_f32_e32 v14, v16, v9
	v_mul_f32_e32 v15, v17, v10
	v_fma_f32 v19, -v4, v14, v16
	v_fma_f32 v20, -v7, v15, v17
	v_fmac_f32_e32 v14, v19, v9
	v_fmac_f32_e32 v15, v20, v10
	v_fma_f32 v4, -v4, v14, v16
	v_mul_f32_e32 v16, v21, v13
	v_fma_f32 v7, -v7, v15, v17
	v_div_fmas_f32 v4, v4, v9, v14
	s_mov_b32 vcc_lo, s1
	v_fma_f32 v9, -v12, v16, v21
	v_div_fmas_f32 v7, v7, v10, v15
	v_fmamk_f32 v10, v11, 0x3377d1cf, v18
	v_cmp_gt_f32_e64 vcc_lo, 0x7f800000, |v11|
	v_div_fixup_f32 v2, v4, v2, v5
	v_fmac_f32_e32 v16, v9, v13
	v_div_fixup_f32 v1, v7, v1, v6
	v_fmac_f32_e32 v10, 0x3f317217, v11
	v_fmaak_f32 v6, v3, v3, 0xc16ae95a
	v_fmaak_f32 v7, v3, v3, 0xc244dfb3
	v_fma_f32 v12, -v12, v16, v21
	v_mul_f32_e32 v1, v3, v1
	v_cndmask_b32_e32 v10, v11, v10, vcc_lo
	s_mov_b32 vcc_lo, s2
	v_cndmask_b32_e64 v9, 0, 0x41b17218, s0
	v_mul_f32_e32 v1, v6, v1
	v_div_fmas_f32 v6, v12, v13, v16
	v_sub_f32_e32 v9, v10, v9
	v_mul_f32_e32 v1, v7, v1
	v_div_fixup_f32 v6, v6, v3, -1.0
	v_fmac_f32_e32 v6, v9, v1
	v_mul_f32_e32 v1, 0x3f22f983, v6
	v_fmac_f32_e32 v1, v3, v2
.LBB22_314:
	s_or_b32 exec_lo, exec_lo, s42
.LBB22_315:
	s_or_b32 exec_lo, exec_lo, s40
                                        ; implicit-def: $vgpr3
.LBB22_316:
	s_andn2_saveexec_b32 s39, s39
	s_cbranch_execz .LBB22_327
; %bb.317:
	v_add_f32_e32 v1, 0xc016cbe4, v3
                                        ; implicit-def: $vgpr5
                                        ; implicit-def: $vgpr4
	v_and_b32_e32 v2, 0x7fffffff, v1
	v_cmp_ngt_f32_e64 s2, 0x48000000, |v1|
	s_and_saveexec_b32 s0, s2
	s_xor_b32 s40, exec_lo, s0
	s_cbranch_execz .LBB22_320
; %bb.318:
	s_mov_b32 s0, 0x7fffff
	v_mov_b32_e32 v6, 0
	v_and_or_b32 v7, v2, s0, 0x800000
	v_lshrrev_b32_e32 v13, 23, v2
	v_mad_u64_u32 v[4:5], null, 0xfe5163ab, v7, 0
	v_add_nc_u32_e32 v14, 0xffffff88, v13
	v_cmp_lt_u32_e32 vcc_lo, 63, v14
	v_mad_u64_u32 v[9:10], null, 0x3c439041, v7, v[5:6]
	v_cndmask_b32_e64 v15, 0, 0xffffffc0, vcc_lo
	v_mov_b32_e32 v5, v10
	v_add_nc_u32_e32 v15, v15, v14
	v_mad_u64_u32 v[10:11], null, 0xdb629599, v7, v[5:6]
	v_cmp_lt_u32_e64 s0, 31, v15
	v_cndmask_b32_e64 v16, 0, 0xffffffe0, s0
	v_mov_b32_e32 v5, v11
	v_cndmask_b32_e32 v4, v10, v4, vcc_lo
	v_mad_u64_u32 v[11:12], null, 0xf534ddc0, v7, v[5:6]
	v_mov_b32_e32 v5, v12
	v_cndmask_b32_e32 v9, v11, v9, vcc_lo
	v_mad_u64_u32 v[12:13], null, 0xfc2757d1, v7, v[5:6]
	v_cndmask_b32_e64 v4, v9, v4, s0
	v_mov_b32_e32 v5, v13
	v_mad_u64_u32 v[13:14], null, 0x4e441529, v7, v[5:6]
	v_mov_b32_e32 v5, v14
	v_add_nc_u32_e32 v14, v16, v15
	v_cndmask_b32_e32 v15, v13, v11, vcc_lo
	v_mad_u64_u32 v[5:6], null, 0xa2f9836e, v7, v[5:6]
	v_cmp_lt_u32_e64 s1, 31, v14
	v_cndmask_b32_e64 v7, 0, 0xffffffe0, s1
	v_cndmask_b32_e32 v5, v5, v12, vcc_lo
	v_cndmask_b32_e32 v6, v6, v13, vcc_lo
	;; [unrolled: 1-line block ×3, first 2 shown]
	v_add_nc_u32_e32 v7, v7, v14
	v_cndmask_b32_e64 v11, v5, v15, s0
	v_cndmask_b32_e64 v5, v6, v5, s0
	v_cndmask_b32_e64 v6, v15, v12, s0
	v_cndmask_b32_e64 v12, v12, v9, s0
	v_sub_nc_u32_e32 v13, 32, v7
	v_cmp_eq_u32_e32 vcc_lo, 0, v7
	v_cndmask_b32_e64 v5, v5, v11, s1
	v_cndmask_b32_e64 v11, v11, v6, s1
	;; [unrolled: 1-line block ×4, first 2 shown]
	v_alignbit_b32 v14, v5, v11, v13
	v_alignbit_b32 v10, v11, v6, v13
	;; [unrolled: 1-line block ×3, first 2 shown]
	v_cndmask_b32_e32 v5, v14, v5, vcc_lo
	v_cndmask_b32_e32 v7, v10, v11, vcc_lo
	;; [unrolled: 1-line block ×3, first 2 shown]
	v_bfe_u32 v9, v5, 29, 1
	v_alignbit_b32 v10, v5, v7, 30
	v_alignbit_b32 v7, v7, v6, 30
	;; [unrolled: 1-line block ×3, first 2 shown]
	v_sub_nc_u32_e32 v11, 0, v9
	v_xor_b32_e32 v10, v10, v11
	v_xor_b32_e32 v6, v7, v11
	;; [unrolled: 1-line block ×3, first 2 shown]
	v_lshrrev_b32_e32 v11, 29, v5
	v_lshrrev_b32_e32 v5, 30, v5
	v_ffbh_u32_e32 v12, v10
	v_add_nc_u32_e32 v5, v9, v5
	v_min_u32_e32 v12, 32, v12
	v_sub_nc_u32_e32 v7, 31, v12
	v_lshlrev_b32_e32 v13, 23, v12
	v_alignbit_b32 v10, v10, v6, v7
	v_alignbit_b32 v4, v6, v4, v7
	v_lshlrev_b32_e32 v6, 31, v11
	v_alignbit_b32 v7, v10, v4, 9
	v_or_b32_e32 v11, 0.5, v6
	v_lshrrev_b32_e32 v10, 9, v10
	v_or_b32_e32 v6, 0x33000000, v6
	v_ffbh_u32_e32 v14, v7
	v_sub_nc_u32_e32 v11, v11, v13
	v_min_u32_e32 v13, 32, v14
	v_or_b32_e32 v10, v10, v11
	v_not_b32_e32 v11, v13
	v_mul_f32_e32 v14, 0x3fc90fda, v10
	v_add_lshl_u32 v12, v13, v12, 23
	v_alignbit_b32 v4, v7, v4, v11
	v_fma_f32 v7, 0x3fc90fda, v10, -v14
	v_sub_nc_u32_e32 v6, v6, v12
	v_lshrrev_b32_e32 v4, 9, v4
	v_fmamk_f32 v7, v10, 0x33a22168, v7
	v_or_b32_e32 v4, v6, v4
	v_fmac_f32_e32 v7, 0x3fc90fda, v4
	v_add_f32_e32 v4, v14, v7
	s_andn2_saveexec_b32 s0, s40
	s_branch .LBB22_321
.LBB22_319:
	s_mov_b32 s2, -1
	s_mov_b32 s1, 0
	s_mov_b32 s3, s37
                                        ; implicit-def: $vgpr3
	s_branch .LBB22_488
.LBB22_320:
	s_andn2_saveexec_b32 s0, s40
.LBB22_321:
	v_mul_f32_e64 v4, 0x3f22f983, |v1|
	v_rndne_f32_e32 v5, v4
	v_fma_f32 v4, 0xbfc90fda, v5, |v1|
	v_fmamk_f32 v4, v5, 0xb3a22168, v4
	v_fmamk_f32 v4, v5, 0xa7c234c4, v4
	v_cvt_i32_f32_e32 v5, v5
; %bb.322:
	s_or_b32 exec_lo, exec_lo, s0
                                        ; implicit-def: $vgpr7
                                        ; implicit-def: $vgpr6
	s_and_saveexec_b32 s0, s2
	s_xor_b32 s2, exec_lo, s0
	s_cbranch_execz .LBB22_324
; %bb.323:
	s_mov_b32 s0, 0x7fffff
	v_mov_b32_e32 v10, 0
	v_and_or_b32 v17, v2, s0, 0x800000
	v_mad_u64_u32 v[6:7], null, 0xfe5163ab, v17, 0
	v_mov_b32_e32 v9, v7
	v_lshrrev_b32_e32 v7, 23, v2
	v_mad_u64_u32 v[11:12], null, 0x3c439041, v17, v[9:10]
	v_add_nc_u32_e32 v7, 0xffffff88, v7
	v_cmp_lt_u32_e32 vcc_lo, 63, v7
	v_mov_b32_e32 v9, v12
	v_cndmask_b32_e64 v16, 0, 0xffffffc0, vcc_lo
	v_mad_u64_u32 v[12:13], null, 0xdb629599, v17, v[9:10]
	v_add_nc_u32_e32 v7, v16, v7
	v_mov_b32_e32 v9, v13
	v_cmp_lt_u32_e64 s0, 31, v7
	v_cndmask_b32_e32 v6, v12, v6, vcc_lo
	v_mad_u64_u32 v[13:14], null, 0xf534ddc0, v17, v[9:10]
	v_cndmask_b32_e64 v18, 0, 0xffffffe0, s0
	v_add_nc_u32_e32 v7, v18, v7
	v_mov_b32_e32 v9, v14
	v_cndmask_b32_e32 v11, v13, v11, vcc_lo
	v_cmp_lt_u32_e64 s1, 31, v7
	v_mad_u64_u32 v[14:15], null, 0xfc2757d1, v17, v[9:10]
	v_cndmask_b32_e64 v6, v11, v6, s0
	v_mov_b32_e32 v9, v15
	v_mad_u64_u32 v[15:16], null, 0x4e441529, v17, v[9:10]
	v_mov_b32_e32 v9, v16
	v_cndmask_b32_e64 v16, 0, 0xffffffe0, s1
	v_mad_u64_u32 v[9:10], null, 0xa2f9836e, v17, v[9:10]
	v_cndmask_b32_e32 v17, v15, v13, vcc_lo
	v_add_nc_u32_e32 v7, v16, v7
	v_cndmask_b32_e32 v9, v9, v14, vcc_lo
	v_cndmask_b32_e32 v10, v10, v15, vcc_lo
	;; [unrolled: 1-line block ×3, first 2 shown]
	v_sub_nc_u32_e32 v15, 32, v7
	v_cmp_eq_u32_e32 vcc_lo, 0, v7
	v_cndmask_b32_e64 v13, v9, v17, s0
	v_cndmask_b32_e64 v9, v10, v9, s0
	;; [unrolled: 1-line block ×8, first 2 shown]
	v_alignbit_b32 v16, v9, v13, v15
	v_alignbit_b32 v12, v13, v10, v15
	;; [unrolled: 1-line block ×3, first 2 shown]
	v_cndmask_b32_e32 v7, v16, v9, vcc_lo
	v_cndmask_b32_e32 v9, v12, v13, vcc_lo
	v_cndmask_b32_e32 v10, v14, v10, vcc_lo
	v_bfe_u32 v11, v7, 29, 1
	v_alignbit_b32 v12, v7, v9, 30
	v_alignbit_b32 v9, v9, v10, 30
	;; [unrolled: 1-line block ×3, first 2 shown]
	v_sub_nc_u32_e32 v13, 0, v11
	v_xor_b32_e32 v12, v12, v13
	v_xor_b32_e32 v9, v9, v13
	;; [unrolled: 1-line block ×3, first 2 shown]
	v_lshrrev_b32_e32 v13, 29, v7
	v_lshrrev_b32_e32 v7, 30, v7
	v_ffbh_u32_e32 v14, v12
	v_add_nc_u32_e32 v7, v11, v7
	v_min_u32_e32 v14, 32, v14
	v_sub_nc_u32_e32 v10, 31, v14
	v_lshlrev_b32_e32 v15, 23, v14
	v_alignbit_b32 v12, v12, v9, v10
	v_alignbit_b32 v6, v9, v6, v10
	v_lshlrev_b32_e32 v9, 31, v13
	v_alignbit_b32 v10, v12, v6, 9
	v_or_b32_e32 v13, 0.5, v9
	v_lshrrev_b32_e32 v12, 9, v12
	v_or_b32_e32 v9, 0x33000000, v9
	v_ffbh_u32_e32 v16, v10
	v_sub_nc_u32_e32 v13, v13, v15
	v_min_u32_e32 v15, 32, v16
	v_or_b32_e32 v12, v12, v13
	v_not_b32_e32 v13, v15
	v_mul_f32_e32 v16, 0x3fc90fda, v12
	v_add_lshl_u32 v14, v15, v14, 23
	v_alignbit_b32 v6, v10, v6, v13
	v_fma_f32 v10, 0x3fc90fda, v12, -v16
	v_sub_nc_u32_e32 v9, v9, v14
	v_lshrrev_b32_e32 v6, 9, v6
	v_fmamk_f32 v10, v12, 0x33a22168, v10
	v_or_b32_e32 v6, v9, v6
	v_fmac_f32_e32 v10, 0x3fc90fda, v6
	v_add_f32_e32 v6, v16, v10
	s_andn2_saveexec_b32 s0, s2
	s_cbranch_execnz .LBB22_325
	s_branch .LBB22_326
.LBB22_324:
	s_andn2_saveexec_b32 s0, s2
.LBB22_325:
	v_mul_f32_e64 v6, 0x3f22f983, |v1|
	v_rndne_f32_e32 v7, v6
	v_fma_f32 v6, 0xbfc90fda, v7, |v1|
	v_fmamk_f32 v6, v7, 0xb3a22168, v6
	v_fmamk_f32 v6, v7, 0xa7c234c4, v6
	v_cvt_i32_f32_e32 v7, v7
.LBB22_326:
	s_or_b32 exec_lo, exec_lo, s0
	v_div_scale_f32 v9, null, v3, v3, 0x40a00000
	v_div_scale_f32 v12, vcc_lo, 0x40a00000, v3, 0x40a00000
	s_mov_b32 s0, 0xb94c1982
	v_rcp_f32_e32 v10, v9
	v_mul_f32_e32 v19, 0x4f800000, v3
	s_mov_b32 s1, 0x37d75334
	v_and_b32_e32 v14, 1, v7
	v_xor_b32_e32 v2, v2, v1
	v_lshlrev_b32_e32 v7, 30, v7
	v_and_b32_e32 v7, 0x80000000, v7
	v_fma_f32 v11, -v9, v10, 1.0
	v_fmac_f32_e32 v10, v11, v10
	v_mul_f32_e32 v11, v12, v10
	v_fma_f32 v13, -v9, v11, v12
	v_fmac_f32_e32 v11, v13, v10
	v_mul_f32_e32 v13, v6, v6
	v_fma_f32 v9, -v9, v11, v12
	v_fmaak_f32 v22, s0, v13, 0x3c0881c4
	v_fmaak_f32 v23, s1, v13, 0xbab64f3b
	v_div_fmas_f32 v9, v9, v10, v11
	v_mul_f32_e32 v10, v4, v4
	v_fmaak_f32 v23, v13, v23, 0x3d2aabf7
	v_and_b32_e32 v11, 1, v5
	v_fmaak_f32 v22, v13, v22, 0xbe2aaa9d
	v_div_fixup_f32 v9, v9, v3, 0x40a00000
	v_fmaak_f32 v20, s0, v10, 0x3c0881c4
	v_cmp_gt_f32_e64 s0, 0xf800000, v3
	v_fmaak_f32 v21, s1, v10, 0xbab64f3b
	v_fmaak_f32 v23, v13, v23, 0xbf000004
	v_mul_f32_e32 v12, v9, v9
	v_fmaak_f32 v20, v10, v20, 0xbe2aaa9d
	v_cndmask_b32_e64 v3, v3, v19, s0
	v_fmaak_f32 v21, v10, v21, 0x3d2aabf7
	v_mul_f32_e32 v22, v13, v22
	v_fmaak_f32 v15, 0, v12, 0x3d513fd3
	v_fmaak_f32 v16, 0, v12, 0x3a15c4d9
	;; [unrolled: 1-line block ×4, first 2 shown]
	v_mul_f32_e32 v20, v10, v20
	v_fmaak_f32 v15, v12, v15, 0x409f6dae
	v_fmaak_f32 v16, v12, v16, 0x3d8cfeeb
	;; [unrolled: 1-line block ×9, first 2 shown]
	v_fmac_f32_e32 v4, v4, v20
	v_fmaak_f32 v15, v12, v15, 0x43b763ca
	v_fmaak_f32 v16, v12, v16, 0x40a25d18
	v_fmaak_f32 v17, v12, v17, 0x40a39628
	v_fmaak_f32 v18, v12, v18, 0x46156947
	v_sqrt_f32_e32 v26, v3
	v_fmaak_f32 v15, v12, v15, 0x4431b6ce
	v_fmaak_f32 v16, v12, v16, 0x410665cf
	;; [unrolled: 1-line block ×4, first 2 shown]
	v_fma_f32 v10, v10, v21, 1.0
	v_fmaak_f32 v15, v12, v15, 0x44155f56
	v_fmaak_f32 v16, v12, v16, 0x40a6b6ea
	;; [unrolled: 1-line block ×4, first 2 shown]
	v_fma_f32 v13, v13, v23, 1.0
	v_fmaak_f32 v15, v12, v15, 0x4353b052
	v_fma_f32 v16, v12, v16, 1.0
	v_fma_f32 v17, v12, v17, 1.0
	v_fmaak_f32 v18, v12, v18, 0x43a80bfb
	v_cmp_eq_u32_e64 s2, 0, v11
	v_fmaak_f32 v12, v12, v15, 0x41c9a7fa
	v_lshlrev_b32_e32 v5, 30, v5
	v_div_scale_f32 v15, null, v16, v16, v17
	v_div_scale_f32 v29, vcc_lo, v17, v16, v17
	v_div_scale_f32 v24, null, v18, v18, v12
	v_rcp_f32_e32 v19, v15
	v_fmac_f32_e32 v6, v6, v22
	v_cndmask_b32_e64 v4, v10, v4, s2
	v_rcp_f32_e32 v25, v24
	v_cmp_eq_u32_e64 s2, 0, v14
	v_and_b32_e32 v5, 0x80000000, v5
	v_add_nc_u32_e32 v22, -1, v26
	v_cndmask_b32_e64 v6, -v6, v13, s2
	v_fma_f32 v27, -v15, v19, 1.0
	v_fma_f32 v10, -v22, v26, v3
	v_xor3_b32 v2, v2, v5, v4
	v_fma_f32 v28, -v24, v25, 1.0
	v_xor_b32_e32 v6, v7, v6
	v_fmac_f32_e32 v19, v27, v19
	v_div_scale_f32 v27, s1, v12, v18, v12
	v_fmac_f32_e32 v25, v28, v25
	v_add_nc_u32_e32 v28, 1, v26
	v_mul_f32_e32 v20, v29, v19
	v_mul_f32_e32 v21, v27, v25
	v_fma_f32 v11, -v28, v26, v3
	v_fma_f32 v23, -v15, v20, v29
	;; [unrolled: 1-line block ×3, first 2 shown]
	v_fmac_f32_e32 v20, v23, v19
	v_fmac_f32_e32 v21, v30, v25
	v_fma_f32 v13, -v15, v20, v29
	v_fma_f32 v4, -v24, v21, v27
	v_div_fmas_f32 v5, v13, v19, v20
	s_mov_b32 vcc_lo, s1
	v_cmp_ge_f32_e64 s1, 0, v10
	v_div_fmas_f32 v4, v4, v25, v21
	v_cmp_class_f32_e64 vcc_lo, v1, 0x1f8
	v_div_fixup_f32 v5, v5, v16, v17
	v_cndmask_b32_e64 v1, v26, v22, s1
	v_div_fixup_f32 v4, v4, v18, v12
	v_cmp_lt_f32_e64 s1, 0, v11
	v_cndmask_b32_e32 v6, 0x7fc00000, v6, vcc_lo
	v_cndmask_b32_e32 v2, 0x7fc00000, v2, vcc_lo
	v_cmp_class_f32_e64 vcc_lo, v3, 0x260
	v_mul_f32_e32 v4, v9, v4
	v_cndmask_b32_e64 v1, v1, v28, s1
	v_mul_f32_e32 v4, v4, v6
	v_mul_f32_e32 v7, 0x37800000, v1
	v_fmac_f32_e32 v4, v5, v2
	v_cndmask_b32_e64 v1, v1, v7, s0
	v_mul_f32_e32 v2, 0x3f4c422a, v4
	v_cndmask_b32_e32 v1, v1, v3, vcc_lo
	v_div_scale_f32 v3, null, v1, v1, v2
	v_rcp_f32_e32 v4, v3
	v_fma_f32 v5, -v3, v4, 1.0
	v_fmac_f32_e32 v4, v5, v4
	v_div_scale_f32 v5, vcc_lo, v2, v1, v2
	v_mul_f32_e32 v6, v5, v4
	v_fma_f32 v7, -v3, v6, v5
	v_fmac_f32_e32 v6, v7, v4
	v_fma_f32 v3, -v3, v6, v5
	v_div_fmas_f32 v3, v3, v4, v6
	v_div_fixup_f32 v1, v3, v1, v2
.LBB22_327:
	s_or_b32 exec_lo, exec_lo, s39
	v_add_co_u32 v3, s0, s8, v0
	v_add_co_ci_u32_e64 v4, null, s9, 0, s0
	s_and_b32 s1, s29, 0xff
	s_cmp_lt_i32 s1, 11
	s_cbranch_scc1 .LBB22_334
; %bb.328:
	s_and_b32 s2, 0xffff, s1
	s_cmp_gt_i32 s2, 25
	s_cbranch_scc0 .LBB22_336
; %bb.329:
	s_cmp_gt_i32 s2, 28
	s_cbranch_scc0 .LBB22_338
; %bb.330:
	;; [unrolled: 3-line block ×4, first 2 shown]
	s_mov_b32 s40, 0
	s_mov_b32 s0, -1
	s_cmp_eq_u32 s2, 46
	s_mov_b32 s39, 0
	s_cbranch_scc0 .LBB22_351
; %bb.333:
	v_bfe_u32 v0, v1, 16, 1
	v_cmp_o_f32_e32 vcc_lo, v1, v1
	v_mov_b32_e32 v2, 0x7fc0
	s_mov_b32 s39, -1
	s_mov_b32 s0, 0
	v_add3_u32 v0, v1, v0, 0x7fff
	v_cndmask_b32_sdwa v0, v2, v0, vcc_lo dst_sel:DWORD dst_unused:UNUSED_PAD src0_sel:DWORD src1_sel:WORD_1
	global_store_dword v[3:4], v0, off
	s_branch .LBB22_351
.LBB22_334:
	s_mov_b32 s2, -1
	s_mov_b32 s39, 0
	s_mov_b32 s0, s36
	s_branch .LBB22_420
.LBB22_335:
	s_mov_b32 s2, -1
	s_mov_b32 s1, 0
	s_mov_b32 s3, s37
                                        ; implicit-def: $vgpr3
	s_branch .LBB22_469
.LBB22_336:
	s_mov_b32 s40, -1
	s_mov_b32 s39, 0
	s_mov_b32 s0, s36
	s_branch .LBB22_378
.LBB22_337:
	s_mov_b32 s2, -1
	s_mov_b32 s1, 0
	s_mov_b32 s3, s37
                                        ; implicit-def: $vgpr3
	s_branch .LBB22_464
.LBB22_338:
	s_mov_b32 s40, -1
	s_mov_b32 s39, 0
	s_mov_b32 s0, s36
	s_branch .LBB22_361
.LBB22_339:
	s_andn2_saveexec_b32 s40, s40
	s_cbranch_execz .LBB22_84
.LBB22_340:
	v_add_f32_e64 v0, 0x46000000, |v1|
	s_andn2_b32 s37, s37, exec_lo
	v_and_b32_e32 v0, 0xff, v0
	v_cmp_ne_u32_e32 vcc_lo, 0, v0
	s_and_b32 s41, vcc_lo, exec_lo
	s_or_b32 s37, s37, s41
	s_or_b32 exec_lo, exec_lo, s40
	v_mov_b32_e32 v2, 0
	s_and_saveexec_b32 s40, s37
	s_cbranch_execnz .LBB22_85
	s_branch .LBB22_86
.LBB22_341:
	s_mov_b32 s2, -1
	s_mov_b32 s1, 0
	s_mov_b32 s3, s37
	s_branch .LBB22_346
.LBB22_342:
	s_mov_b32 s40, -1
	s_mov_b32 s39, 0
	s_mov_b32 s0, s36
	s_branch .LBB22_357
.LBB22_343:
	s_andn2_saveexec_b32 s40, s40
	s_cbranch_execz .LBB22_97
.LBB22_344:
	v_add_f32_e64 v0, 0x42800000, |v1|
	s_andn2_b32 s37, s37, exec_lo
	v_and_b32_e32 v0, 0xff, v0
	v_cmp_ne_u32_e32 vcc_lo, 0, v0
	s_and_b32 s41, vcc_lo, exec_lo
	s_or_b32 s37, s37, s41
	s_or_b32 exec_lo, exec_lo, s40
	v_mov_b32_e32 v2, 0
	s_and_saveexec_b32 s40, s37
	s_cbranch_execnz .LBB22_98
	s_branch .LBB22_99
.LBB22_345:
	s_mov_b32 s3, -1
	s_mov_b32 s1, 0
.LBB22_346:
                                        ; implicit-def: $vgpr3
.LBB22_347:
	s_and_b32 vcc_lo, exec_lo, s2
	s_cbranch_vccz .LBB22_463
; %bb.348:
	s_cmp_eq_u32 s0, 44
	s_cbranch_scc0 .LBB22_462
; %bb.349:
	global_load_ubyte v3, v[1:2], off
	s_mov_b32 s3, 0
	s_mov_b32 s1, -1
	s_waitcnt vmcnt(0)
	v_lshlrev_b32_e32 v4, 23, v3
	v_cmp_ne_u32_e32 vcc_lo, 0xff, v3
	v_cndmask_b32_e32 v4, 0x7f800001, v4, vcc_lo
	v_cmp_ne_u32_e32 vcc_lo, 0, v3
	v_cndmask_b32_e32 v3, 0x400000, v4, vcc_lo
	s_branch .LBB22_463
.LBB22_350:
	s_mov_b32 s40, -1
	s_mov_b32 s39, 0
	s_mov_b32 s0, s36
.LBB22_351:
	s_and_b32 vcc_lo, exec_lo, s40
	s_cbranch_vccz .LBB22_356
; %bb.352:
	s_cmp_eq_u32 s2, 44
	s_mov_b32 s0, -1
	s_cbranch_scc0 .LBB22_356
; %bb.353:
	v_bfe_u32 v2, v1, 23, 8
	v_mov_b32_e32 v0, 0xff
	s_mov_b32 s39, exec_lo
	v_cmpx_ne_u32_e32 0xff, v2
	s_cbranch_execz .LBB22_355
; %bb.354:
	v_and_b32_e32 v0, 0x400000, v1
	v_and_or_b32 v2, 0x3fffff, v1, v2
	v_cmp_ne_u32_e32 vcc_lo, 0, v0
	v_cmp_ne_u32_e64 s0, 0, v2
	v_lshrrev_b32_e32 v0, 23, v1
	s_and_b32 s0, vcc_lo, s0
	v_cndmask_b32_e64 v2, 0, 1, s0
	v_add_nc_u32_e32 v0, v0, v2
.LBB22_355:
	s_or_b32 exec_lo, exec_lo, s39
	s_mov_b32 s39, -1
	s_mov_b32 s0, 0
	global_store_byte v[3:4], v0, off
.LBB22_356:
	s_mov_b32 s40, 0
.LBB22_357:
	s_and_b32 vcc_lo, exec_lo, s40
	s_cbranch_vccz .LBB22_360
; %bb.358:
	s_cmp_eq_u32 s2, 29
	s_mov_b32 s0, -1
	s_cbranch_scc0 .LBB22_360
; %bb.359:
	v_trunc_f32_e32 v0, v1
	s_mov_b32 s39, -1
	s_mov_b32 s0, 0
	s_mov_b32 s40, 0
	v_mul_f32_e32 v2, 0x2f800000, v0
	v_floor_f32_e32 v2, v2
	v_fmamk_f32 v0, v2, 0xcf800000, v0
	v_cvt_u32_f32_e32 v6, v2
	v_cvt_u32_f32_e32 v5, v0
	global_store_dwordx2 v[3:4], v[5:6], off
	s_branch .LBB22_361
.LBB22_360:
	s_mov_b32 s40, 0
.LBB22_361:
	s_and_b32 vcc_lo, exec_lo, s40
	s_cbranch_vccz .LBB22_377
; %bb.362:
	s_cmp_lt_i32 s2, 27
	s_mov_b32 s39, -1
	s_cbranch_scc1 .LBB22_368
; %bb.363:
	v_cvt_u32_f32_e32 v0, v1
	s_cmp_gt_i32 s2, 27
	s_cbranch_scc0 .LBB22_365
; %bb.364:
	s_mov_b32 s39, 0
	global_store_dword v[3:4], v0, off
.LBB22_365:
	s_andn2_b32 vcc_lo, exec_lo, s39
	s_cbranch_vccnz .LBB22_367
; %bb.366:
	global_store_short v[3:4], v0, off
.LBB22_367:
	s_mov_b32 s39, 0
.LBB22_368:
	s_andn2_b32 vcc_lo, exec_lo, s39
	s_cbranch_vccnz .LBB22_376
; %bb.369:
	v_and_b32_e32 v0, 0x7fffffff, v1
	v_mov_b32_e32 v2, 0x80
	s_mov_b32 s39, exec_lo
	v_cmpx_gt_u32_e32 0x43800000, v0
	s_cbranch_execz .LBB22_375
; %bb.370:
	v_cmp_lt_u32_e32 vcc_lo, 0x3bffffff, v0
	s_mov_b32 s40, 0
                                        ; implicit-def: $vgpr0
	s_and_saveexec_b32 s42, vcc_lo
	s_xor_b32 s42, exec_lo, s42
	s_cbranch_execz .LBB22_603
; %bb.371:
	v_bfe_u32 v0, v1, 20, 1
	s_mov_b32 s40, exec_lo
	v_add3_u32 v0, v1, v0, 0x487ffff
	v_lshrrev_b32_e32 v0, 20, v0
	s_andn2_saveexec_b32 s42, s42
	s_cbranch_execnz .LBB22_604
.LBB22_372:
	s_or_b32 exec_lo, exec_lo, s42
	v_mov_b32_e32 v2, 0
	s_and_saveexec_b32 s42, s40
.LBB22_373:
	v_lshrrev_b32_e32 v2, 24, v1
	v_and_or_b32 v2, 0x80, v2, v0
.LBB22_374:
	s_or_b32 exec_lo, exec_lo, s42
.LBB22_375:
	s_or_b32 exec_lo, exec_lo, s39
	global_store_byte v[3:4], v2, off
.LBB22_376:
	s_mov_b32 s39, -1
.LBB22_377:
	s_mov_b32 s40, 0
.LBB22_378:
	s_and_b32 vcc_lo, exec_lo, s40
	s_cbranch_vccz .LBB22_419
; %bb.379:
	s_cmp_gt_i32 s2, 22
	s_mov_b32 s40, -1
	s_cbranch_scc0 .LBB22_411
; %bb.380:
	s_cmp_lt_i32 s2, 24
	s_mov_b32 s39, -1
	s_cbranch_scc1 .LBB22_400
; %bb.381:
	s_cmp_gt_i32 s2, 24
	s_cbranch_scc0 .LBB22_389
; %bb.382:
	v_and_b32_e32 v0, 0x7fffffff, v1
	v_mov_b32_e32 v2, 0x80
	s_mov_b32 s39, exec_lo
	v_cmpx_gt_u32_e32 0x47800000, v0
	s_cbranch_execz .LBB22_388
; %bb.383:
	v_cmp_lt_u32_e32 vcc_lo, 0x37ffffff, v0
	s_mov_b32 s40, 0
                                        ; implicit-def: $vgpr0
	s_and_saveexec_b32 s42, vcc_lo
	s_xor_b32 s42, exec_lo, s42
	s_cbranch_execz .LBB22_606
; %bb.384:
	v_bfe_u32 v0, v1, 21, 1
	s_mov_b32 s40, exec_lo
	v_add3_u32 v0, v1, v0, 0x88fffff
	v_lshrrev_b32_e32 v0, 21, v0
	s_andn2_saveexec_b32 s42, s42
	s_cbranch_execnz .LBB22_607
.LBB22_385:
	s_or_b32 exec_lo, exec_lo, s42
	v_mov_b32_e32 v2, 0
	s_and_saveexec_b32 s42, s40
.LBB22_386:
	v_lshrrev_b32_e32 v2, 24, v1
	v_and_or_b32 v2, 0x80, v2, v0
.LBB22_387:
	s_or_b32 exec_lo, exec_lo, s42
.LBB22_388:
	s_or_b32 exec_lo, exec_lo, s39
	s_mov_b32 s39, 0
	global_store_byte v[3:4], v2, off
.LBB22_389:
	s_and_b32 vcc_lo, exec_lo, s39
	s_cbranch_vccz .LBB22_399
; %bb.390:
	v_and_b32_e32 v2, 0x7fffffff, v1
	s_mov_b32 s39, exec_lo
                                        ; implicit-def: $vgpr0
	v_cmpx_gt_u32_e32 0x43f00000, v2
	s_xor_b32 s39, exec_lo, s39
	s_cbranch_execz .LBB22_396
; %bb.391:
	s_mov_b32 s40, exec_lo
                                        ; implicit-def: $vgpr0
	v_cmpx_lt_u32_e32 0x3c7fffff, v2
	s_xor_b32 s40, exec_lo, s40
; %bb.392:
	v_bfe_u32 v0, v1, 20, 1
	v_add3_u32 v0, v1, v0, 0x407ffff
	v_and_b32_e32 v2, 0xff00000, v0
	v_lshrrev_b32_e32 v0, 20, v0
	v_cmp_ne_u32_e32 vcc_lo, 0x7f00000, v2
	v_cndmask_b32_e32 v0, 0x7e, v0, vcc_lo
; %bb.393:
	s_andn2_saveexec_b32 s40, s40
; %bb.394:
	v_add_f32_e64 v0, 0x46800000, |v1|
; %bb.395:
	s_or_b32 exec_lo, exec_lo, s40
                                        ; implicit-def: $vgpr2
.LBB22_396:
	s_andn2_saveexec_b32 s39, s39
; %bb.397:
	v_mov_b32_e32 v0, 0x7f
	v_cmp_lt_u32_e32 vcc_lo, 0x7f800000, v2
	v_cndmask_b32_e32 v0, 0x7e, v0, vcc_lo
; %bb.398:
	s_or_b32 exec_lo, exec_lo, s39
	v_lshrrev_b32_e32 v2, 24, v1
	v_and_or_b32 v0, 0x80, v2, v0
	global_store_byte v[3:4], v0, off
.LBB22_399:
	s_mov_b32 s39, 0
.LBB22_400:
	s_andn2_b32 vcc_lo, exec_lo, s39
	s_cbranch_vccnz .LBB22_410
; %bb.401:
	v_and_b32_e32 v2, 0x7fffffff, v1
	s_mov_b32 s39, exec_lo
                                        ; implicit-def: $vgpr0
	v_cmpx_gt_u32_e32 0x47800000, v2
	s_xor_b32 s39, exec_lo, s39
	s_cbranch_execz .LBB22_407
; %bb.402:
	s_mov_b32 s40, exec_lo
                                        ; implicit-def: $vgpr0
	v_cmpx_lt_u32_e32 0x387fffff, v2
	s_xor_b32 s40, exec_lo, s40
; %bb.403:
	v_bfe_u32 v0, v1, 21, 1
	v_add3_u32 v0, v1, v0, 0x80fffff
	v_lshrrev_b32_e32 v0, 21, v0
; %bb.404:
	s_andn2_saveexec_b32 s40, s40
; %bb.405:
	v_add_f32_e64 v0, 0x43000000, |v1|
; %bb.406:
	s_or_b32 exec_lo, exec_lo, s40
                                        ; implicit-def: $vgpr2
.LBB22_407:
	s_andn2_saveexec_b32 s39, s39
; %bb.408:
	v_mov_b32_e32 v0, 0x7f
	v_cmp_lt_u32_e32 vcc_lo, 0x7f800000, v2
	v_cndmask_b32_e32 v0, 0x7c, v0, vcc_lo
; %bb.409:
	s_or_b32 exec_lo, exec_lo, s39
	v_lshrrev_b32_e32 v2, 24, v1
	v_and_or_b32 v0, 0x80, v2, v0
	global_store_byte v[3:4], v0, off
.LBB22_410:
	s_mov_b32 s40, 0
	s_mov_b32 s39, -1
.LBB22_411:
	s_andn2_b32 vcc_lo, exec_lo, s40
	s_cbranch_vccnz .LBB22_419
; %bb.412:
	s_cmp_gt_i32 s2, 14
	s_mov_b32 s40, -1
	s_cbranch_scc0 .LBB22_416
; %bb.413:
	s_cmp_eq_u32 s2, 15
	s_mov_b32 s0, -1
	s_cbranch_scc0 .LBB22_415
; %bb.414:
	v_bfe_u32 v0, v1, 16, 1
	v_cmp_o_f32_e32 vcc_lo, v1, v1
	v_mov_b32_e32 v2, 0x7fc0
	s_mov_b32 s39, -1
	s_mov_b32 s0, 0
	v_add3_u32 v0, v1, v0, 0x7fff
	v_cndmask_b32_sdwa v0, v2, v0, vcc_lo dst_sel:DWORD dst_unused:UNUSED_PAD src0_sel:DWORD src1_sel:WORD_1
	global_store_short v[3:4], v0, off
.LBB22_415:
	s_mov_b32 s40, 0
.LBB22_416:
	s_and_b32 vcc_lo, exec_lo, s40
	s_cbranch_vccz .LBB22_419
; %bb.417:
	s_cmp_eq_u32 s2, 11
	s_mov_b32 s0, -1
	s_cbranch_scc0 .LBB22_419
; %bb.418:
	v_cmp_neq_f32_e32 vcc_lo, 0, v1
	s_mov_b32 s0, 0
	s_mov_b32 s39, -1
	v_cndmask_b32_e64 v0, 0, 1, vcc_lo
	global_store_byte v[3:4], v0, off
.LBB22_419:
	s_mov_b32 s2, 0
.LBB22_420:
	s_and_b32 vcc_lo, exec_lo, s2
	s_cbranch_vccz .LBB22_459
; %bb.421:
	s_and_b32 s1, 0xffff, s1
	s_mov_b32 s2, -1
	s_cmp_lt_i32 s1, 5
	s_cbranch_scc1 .LBB22_442
; %bb.422:
	s_cmp_lt_i32 s1, 8
	s_cbranch_scc1 .LBB22_432
; %bb.423:
	;; [unrolled: 3-line block ×3, first 2 shown]
	s_cmp_gt_i32 s1, 9
	s_cbranch_scc0 .LBB22_426
; %bb.425:
	v_cvt_f64_f32_e32 v[9:10], v1
	v_mov_b32_e32 v11, 0
	s_mov_b32 s2, 0
	v_mov_b32_e32 v12, v11
	global_store_dwordx4 v[3:4], v[9:12], off
.LBB22_426:
	s_andn2_b32 vcc_lo, exec_lo, s2
	s_cbranch_vccnz .LBB22_428
; %bb.427:
	v_mov_b32_e32 v2, 0
	global_store_dwordx2 v[3:4], v[1:2], off
.LBB22_428:
	s_mov_b32 s2, 0
.LBB22_429:
	s_andn2_b32 vcc_lo, exec_lo, s2
	s_cbranch_vccnz .LBB22_431
; %bb.430:
	v_cvt_f16_f32_e32 v0, v1
	v_and_b32_e32 v0, 0xffff, v0
	global_store_dword v[3:4], v0, off
.LBB22_431:
	s_mov_b32 s2, 0
.LBB22_432:
	s_andn2_b32 vcc_lo, exec_lo, s2
	s_cbranch_vccnz .LBB22_441
; %bb.433:
	s_cmp_lt_i32 s1, 6
	s_mov_b32 s2, -1
	s_cbranch_scc1 .LBB22_439
; %bb.434:
	s_cmp_gt_i32 s1, 6
	s_cbranch_scc0 .LBB22_436
; %bb.435:
	v_cvt_f64_f32_e32 v[5:6], v1
	s_mov_b32 s2, 0
	global_store_dwordx2 v[3:4], v[5:6], off
.LBB22_436:
	s_andn2_b32 vcc_lo, exec_lo, s2
	s_cbranch_vccnz .LBB22_438
; %bb.437:
	global_store_dword v[3:4], v1, off
.LBB22_438:
	s_mov_b32 s2, 0
.LBB22_439:
	s_andn2_b32 vcc_lo, exec_lo, s2
	s_cbranch_vccnz .LBB22_441
; %bb.440:
	v_cvt_f16_f32_e32 v0, v1
	global_store_short v[3:4], v0, off
.LBB22_441:
	s_mov_b32 s2, 0
.LBB22_442:
	s_andn2_b32 vcc_lo, exec_lo, s2
	s_cbranch_vccnz .LBB22_458
; %bb.443:
	s_cmp_lt_i32 s1, 2
	s_mov_b32 s2, -1
	s_cbranch_scc1 .LBB22_453
; %bb.444:
	s_cmp_lt_i32 s1, 3
	s_cbranch_scc1 .LBB22_450
; %bb.445:
	s_cmp_gt_i32 s1, 3
	s_cbranch_scc0 .LBB22_447
; %bb.446:
	v_trunc_f32_e32 v0, v1
	s_mov_b32 s2, 0
	v_mul_f32_e64 v2, 0x2f800000, |v0|
	v_floor_f32_e32 v2, v2
	v_fma_f32 v5, 0xcf800000, v2, |v0|
	v_ashrrev_i32_e32 v0, 31, v0
	v_cvt_u32_f32_e32 v2, v2
	v_cvt_u32_f32_e32 v5, v5
	v_xor_b32_e32 v2, v2, v0
	v_xor_b32_e32 v5, v5, v0
	v_sub_co_u32 v5, vcc_lo, v5, v0
	v_sub_co_ci_u32_e64 v6, null, v2, v0, vcc_lo
	global_store_dwordx2 v[3:4], v[5:6], off
.LBB22_447:
	s_andn2_b32 vcc_lo, exec_lo, s2
	s_cbranch_vccnz .LBB22_449
; %bb.448:
	v_cvt_i32_f32_e32 v0, v1
	global_store_dword v[3:4], v0, off
.LBB22_449:
	s_mov_b32 s2, 0
.LBB22_450:
	s_andn2_b32 vcc_lo, exec_lo, s2
	s_cbranch_vccnz .LBB22_452
; %bb.451:
	v_cvt_i32_f32_e32 v0, v1
	global_store_short v[3:4], v0, off
.LBB22_452:
	s_mov_b32 s2, 0
.LBB22_453:
	s_andn2_b32 vcc_lo, exec_lo, s2
	s_cbranch_vccnz .LBB22_458
; %bb.454:
	s_cmp_gt_i32 s1, 0
	s_mov_b32 s1, -1
	s_cbranch_scc0 .LBB22_456
; %bb.455:
	v_cvt_i32_f32_e32 v0, v1
	s_mov_b32 s1, 0
	global_store_byte v[3:4], v0, off
.LBB22_456:
	s_andn2_b32 vcc_lo, exec_lo, s1
	s_cbranch_vccnz .LBB22_458
; %bb.457:
	v_trunc_f32_e32 v0, v1
	v_mul_f32_e64 v1, 0x2f800000, |v0|
	v_floor_f32_e32 v1, v1
	v_fma_f32 v1, 0xcf800000, v1, |v0|
	v_ashrrev_i32_e32 v0, 31, v0
	v_cvt_u32_f32_e32 v1, v1
	v_xor_b32_e32 v1, v1, v0
	v_sub_nc_u32_e32 v0, v1, v0
	global_store_byte v[3:4], v0, off
.LBB22_458:
	s_mov_b32 s39, -1
.LBB22_459:
	s_andn2_b32 vcc_lo, exec_lo, s39
	s_cbranch_vccnz .LBB22_461
; %bb.460:
	v_add_nc_u32_e32 v8, 0x80, v8
	s_mov_b32 s1, -1
	s_branch .LBB22_574
.LBB22_461:
	s_mov_b32 s1, 0
	s_branch .LBB22_573
.LBB22_462:
	s_mov_b32 s3, -1
                                        ; implicit-def: $vgpr3
.LBB22_463:
	s_mov_b32 s2, 0
.LBB22_464:
	s_and_b32 vcc_lo, exec_lo, s2
	s_cbranch_vccz .LBB22_468
; %bb.465:
	s_cmp_eq_u32 s0, 29
	s_cbranch_scc0 .LBB22_467
; %bb.466:
	global_load_dwordx2 v[3:4], v[1:2], off
	s_mov_b32 s1, -1
	s_mov_b32 s3, 0
	s_mov_b32 s2, 0
	s_waitcnt vmcnt(0)
	v_ffbh_u32_e32 v5, v4
	v_min_u32_e32 v5, 32, v5
	v_lshlrev_b64 v[3:4], v5, v[3:4]
	v_min_u32_e32 v3, 1, v3
	v_or_b32_e32 v3, v4, v3
	v_sub_nc_u32_e32 v4, 32, v5
	v_cvt_f32_u32_e32 v3, v3
	v_ldexp_f32 v3, v3, v4
	s_branch .LBB22_469
.LBB22_467:
	s_mov_b32 s3, -1
                                        ; implicit-def: $vgpr3
.LBB22_468:
	s_mov_b32 s2, 0
.LBB22_469:
	s_and_b32 vcc_lo, exec_lo, s2
	s_cbranch_vccz .LBB22_487
; %bb.470:
	s_cmp_lt_i32 s0, 27
	s_cbranch_scc1 .LBB22_473
; %bb.471:
	s_cmp_gt_i32 s0, 27
	s_cbranch_scc0 .LBB22_474
; %bb.472:
	global_load_dword v3, v[1:2], off
	s_mov_b32 s1, 0
	s_waitcnt vmcnt(0)
	v_cvt_f32_u32_e32 v3, v3
	s_branch .LBB22_475
.LBB22_473:
	s_mov_b32 s1, -1
                                        ; implicit-def: $vgpr3
	s_branch .LBB22_478
.LBB22_474:
	s_mov_b32 s1, -1
                                        ; implicit-def: $vgpr3
.LBB22_475:
	s_andn2_b32 vcc_lo, exec_lo, s1
	s_cbranch_vccnz .LBB22_477
; %bb.476:
	global_load_ushort v3, v[1:2], off
	s_waitcnt vmcnt(0)
	v_cvt_f32_u32_e32 v3, v3
.LBB22_477:
	s_mov_b32 s1, 0
.LBB22_478:
	s_andn2_b32 vcc_lo, exec_lo, s1
	s_cbranch_vccnz .LBB22_486
; %bb.479:
	global_load_ubyte v4, v[1:2], off
	s_mov_b32 s1, 0
	s_mov_b32 s2, exec_lo
	s_waitcnt vmcnt(0)
	v_cmpx_lt_i16_e32 0x7f, v4
	s_xor_b32 s2, exec_lo, s2
	s_cbranch_execz .LBB22_500
; %bb.480:
	s_mov_b32 s1, -1
	s_mov_b32 s39, exec_lo
	v_cmpx_eq_u16_e32 0x80, v4
; %bb.481:
	s_xor_b32 s1, exec_lo, -1
; %bb.482:
	s_or_b32 exec_lo, exec_lo, s39
	s_and_b32 s1, s1, exec_lo
	s_or_saveexec_b32 s2, s2
	v_mov_b32_e32 v3, 0x7f800001
	s_xor_b32 exec_lo, exec_lo, s2
	s_cbranch_execnz .LBB22_501
.LBB22_483:
	s_or_b32 exec_lo, exec_lo, s2
	s_and_saveexec_b32 s2, s1
	s_cbranch_execz .LBB22_485
.LBB22_484:
	v_and_b32_e32 v3, 0xffff, v4
	v_lshlrev_b32_e32 v4, 24, v4
	v_and_b32_e32 v5, 7, v3
	v_bfe_u32 v9, v3, 3, 4
	v_and_b32_e32 v4, 0x80000000, v4
	v_ffbh_u32_e32 v6, v5
	v_cmp_eq_u32_e32 vcc_lo, 0, v9
	v_min_u32_e32 v6, 32, v6
	v_subrev_nc_u32_e32 v7, 28, v6
	v_sub_nc_u32_e32 v6, 29, v6
	v_lshlrev_b32_e32 v3, v7, v3
	v_cndmask_b32_e32 v6, v9, v6, vcc_lo
	v_and_b32_e32 v3, 7, v3
	v_cndmask_b32_e32 v3, v5, v3, vcc_lo
	v_lshl_add_u32 v5, v6, 23, 0x3b800000
	v_lshlrev_b32_e32 v3, 20, v3
	v_or3_b32 v3, v4, v5, v3
.LBB22_485:
	s_or_b32 exec_lo, exec_lo, s2
.LBB22_486:
	s_mov_b32 s1, -1
.LBB22_487:
	s_mov_b32 s2, 0
.LBB22_488:
	s_and_b32 vcc_lo, exec_lo, s2
	s_cbranch_vccz .LBB22_523
; %bb.489:
	s_cmp_gt_i32 s0, 22
	s_cbranch_scc0 .LBB22_499
; %bb.490:
	s_cmp_lt_i32 s0, 24
	s_cbranch_scc1 .LBB22_502
; %bb.491:
	s_cmp_gt_i32 s0, 24
	s_cbranch_scc0 .LBB22_503
; %bb.492:
	global_load_ubyte v4, v[1:2], off
	s_mov_b32 s1, 0
	s_mov_b32 s2, exec_lo
	s_waitcnt vmcnt(0)
	v_cmpx_lt_i16_e32 0x7f, v4
	s_xor_b32 s2, exec_lo, s2
	s_cbranch_execz .LBB22_515
; %bb.493:
	s_mov_b32 s1, -1
	s_mov_b32 s39, exec_lo
	v_cmpx_eq_u16_e32 0x80, v4
; %bb.494:
	s_xor_b32 s1, exec_lo, -1
; %bb.495:
	s_or_b32 exec_lo, exec_lo, s39
	s_and_b32 s1, s1, exec_lo
	s_or_saveexec_b32 s2, s2
	v_mov_b32_e32 v3, 0x7f800001
	s_xor_b32 exec_lo, exec_lo, s2
	s_cbranch_execnz .LBB22_516
.LBB22_496:
	s_or_b32 exec_lo, exec_lo, s2
	s_and_saveexec_b32 s2, s1
	s_cbranch_execz .LBB22_498
.LBB22_497:
	v_and_b32_e32 v3, 0xffff, v4
	v_lshlrev_b32_e32 v4, 24, v4
	v_and_b32_e32 v5, 3, v3
	v_bfe_u32 v9, v3, 2, 5
	v_and_b32_e32 v4, 0x80000000, v4
	v_ffbh_u32_e32 v6, v5
	v_cmp_eq_u32_e32 vcc_lo, 0, v9
	v_min_u32_e32 v6, 32, v6
	v_subrev_nc_u32_e32 v7, 29, v6
	v_sub_nc_u32_e32 v6, 30, v6
	v_lshlrev_b32_e32 v3, v7, v3
	v_cndmask_b32_e32 v6, v9, v6, vcc_lo
	v_and_b32_e32 v3, 3, v3
	v_cndmask_b32_e32 v3, v5, v3, vcc_lo
	v_lshl_add_u32 v5, v6, 23, 0x37800000
	v_lshlrev_b32_e32 v3, 21, v3
	v_or3_b32 v3, v4, v5, v3
.LBB22_498:
	s_or_b32 exec_lo, exec_lo, s2
	s_mov_b32 s1, 0
	s_branch .LBB22_504
.LBB22_499:
	s_mov_b32 s2, -1
                                        ; implicit-def: $vgpr3
	s_branch .LBB22_510
.LBB22_500:
	s_or_saveexec_b32 s2, s2
	v_mov_b32_e32 v3, 0x7f800001
	s_xor_b32 exec_lo, exec_lo, s2
	s_cbranch_execz .LBB22_483
.LBB22_501:
	v_cmp_ne_u16_e32 vcc_lo, 0, v4
	v_mov_b32_e32 v3, 0
	s_andn2_b32 s1, s1, exec_lo
	s_and_b32 s39, vcc_lo, exec_lo
	s_or_b32 s1, s1, s39
	s_or_b32 exec_lo, exec_lo, s2
	s_and_saveexec_b32 s2, s1
	s_cbranch_execnz .LBB22_484
	s_branch .LBB22_485
.LBB22_502:
	s_mov_b32 s1, -1
                                        ; implicit-def: $vgpr3
	s_branch .LBB22_507
.LBB22_503:
	s_mov_b32 s1, -1
                                        ; implicit-def: $vgpr3
.LBB22_504:
	s_and_b32 vcc_lo, exec_lo, s1
	s_cbranch_vccz .LBB22_506
; %bb.505:
	global_load_ubyte v3, v[1:2], off
	s_waitcnt vmcnt(0)
	v_lshlrev_b32_e32 v3, 24, v3
	v_and_b32_e32 v4, 0x7f000000, v3
	v_ffbh_u32_e32 v5, v4
	v_add_nc_u32_e32 v7, 0x1000000, v4
	v_cmp_ne_u32_e32 vcc_lo, 0, v4
	v_min_u32_e32 v5, 32, v5
	v_sub_nc_u32_e64 v5, v5, 4 clamp
	v_lshlrev_b32_e32 v6, v5, v4
	v_lshlrev_b32_e32 v5, 23, v5
	v_lshrrev_b32_e32 v6, 4, v6
	v_sub_nc_u32_e32 v5, v6, v5
	v_ashrrev_i32_e32 v6, 8, v7
	v_add_nc_u32_e32 v5, 0x3c000000, v5
	v_and_or_b32 v5, 0x7f800000, v6, v5
	v_cndmask_b32_e32 v4, 0, v5, vcc_lo
	v_and_or_b32 v3, 0x80000000, v3, v4
.LBB22_506:
	s_mov_b32 s1, 0
.LBB22_507:
	s_andn2_b32 vcc_lo, exec_lo, s1
	s_cbranch_vccnz .LBB22_509
; %bb.508:
	global_load_ubyte v3, v[1:2], off
	s_waitcnt vmcnt(0)
	v_lshlrev_b32_e32 v4, 25, v3
	v_lshlrev_b16 v3, 8, v3
	v_lshrrev_b32_e32 v5, 4, v4
	v_and_or_b32 v6, 0x7f00, v3, 0.5
	v_cmp_gt_u32_e32 vcc_lo, 0x8000000, v4
	v_bfe_i32 v3, v3, 0, 16
	v_or_b32_e32 v5, 0x70000000, v5
	v_add_f32_e32 v6, -0.5, v6
	v_mul_f32_e32 v5, 0x7800000, v5
	v_cndmask_b32_e32 v4, v5, v6, vcc_lo
	v_and_or_b32 v3, 0x80000000, v3, v4
.LBB22_509:
	s_mov_b32 s2, 0
	s_mov_b32 s1, -1
.LBB22_510:
	s_andn2_b32 vcc_lo, exec_lo, s2
	s_cbranch_vccnz .LBB22_523
; %bb.511:
	s_cmp_gt_i32 s0, 14
	s_cbranch_scc0 .LBB22_514
; %bb.512:
	s_cmp_eq_u32 s0, 15
	s_cbranch_scc0 .LBB22_517
; %bb.513:
	global_load_ushort v3, v[1:2], off
	s_mov_b32 s1, -1
	s_mov_b32 s3, 0
	s_waitcnt vmcnt(0)
	v_lshlrev_b32_e32 v3, 16, v3
	s_branch .LBB22_518
.LBB22_514:
	s_mov_b32 s2, -1
                                        ; implicit-def: $vgpr3
	s_branch .LBB22_519
.LBB22_515:
	s_or_saveexec_b32 s2, s2
	v_mov_b32_e32 v3, 0x7f800001
	s_xor_b32 exec_lo, exec_lo, s2
	s_cbranch_execz .LBB22_496
.LBB22_516:
	v_cmp_ne_u16_e32 vcc_lo, 0, v4
	v_mov_b32_e32 v3, 0
	s_andn2_b32 s1, s1, exec_lo
	s_and_b32 s39, vcc_lo, exec_lo
	s_or_b32 s1, s1, s39
	s_or_b32 exec_lo, exec_lo, s2
	s_and_saveexec_b32 s2, s1
	s_cbranch_execnz .LBB22_497
	s_branch .LBB22_498
.LBB22_517:
	s_mov_b32 s3, -1
                                        ; implicit-def: $vgpr3
.LBB22_518:
	s_mov_b32 s2, 0
.LBB22_519:
	s_and_b32 vcc_lo, exec_lo, s2
	s_cbranch_vccz .LBB22_523
; %bb.520:
	s_cmp_eq_u32 s0, 11
	s_cbranch_scc0 .LBB22_522
; %bb.521:
	global_load_ubyte v3, v[1:2], off
	s_mov_b32 s3, 0
	s_mov_b32 s1, -1
	s_waitcnt vmcnt(0)
	v_cmp_ne_u16_e32 vcc_lo, 0, v3
	v_cndmask_b32_e64 v3, 0, 1.0, vcc_lo
	s_branch .LBB22_523
.LBB22_522:
	s_mov_b32 s3, -1
                                        ; implicit-def: $vgpr3
.LBB22_523:
	s_branch .LBB22_309
.LBB22_524:
	s_cmp_lt_i32 s0, 5
	s_cbranch_scc1 .LBB22_529
; %bb.525:
	s_cmp_lt_i32 s0, 8
	s_cbranch_scc1 .LBB22_530
; %bb.526:
	;; [unrolled: 3-line block ×3, first 2 shown]
	s_cmp_gt_i32 s0, 9
	s_cbranch_scc0 .LBB22_532
; %bb.528:
	global_load_dwordx2 v[3:4], v[1:2], off
	s_mov_b32 s1, 0
	s_waitcnt vmcnt(0)
	v_cvt_f32_f64_e32 v3, v[3:4]
	s_branch .LBB22_533
.LBB22_529:
	s_mov_b32 s1, -1
                                        ; implicit-def: $vgpr3
	s_branch .LBB22_551
.LBB22_530:
	s_mov_b32 s1, -1
                                        ; implicit-def: $vgpr3
	s_branch .LBB22_539
.LBB22_531:
	s_mov_b32 s1, -1
                                        ; implicit-def: $vgpr3
	s_branch .LBB22_536
.LBB22_532:
	s_mov_b32 s1, -1
                                        ; implicit-def: $vgpr3
.LBB22_533:
	s_andn2_b32 vcc_lo, exec_lo, s1
	s_cbranch_vccnz .LBB22_535
; %bb.534:
	global_load_dword v3, v[1:2], off
.LBB22_535:
	s_mov_b32 s1, 0
.LBB22_536:
	s_andn2_b32 vcc_lo, exec_lo, s1
	s_cbranch_vccnz .LBB22_538
; %bb.537:
	global_load_dword v3, v[1:2], off
	s_waitcnt vmcnt(0)
	v_cvt_f32_f16_e32 v3, v3
.LBB22_538:
	s_mov_b32 s1, 0
.LBB22_539:
	s_andn2_b32 vcc_lo, exec_lo, s1
	s_cbranch_vccnz .LBB22_550
; %bb.540:
	s_cmp_lt_i32 s0, 6
	s_cbranch_scc1 .LBB22_543
; %bb.541:
	s_cmp_gt_i32 s0, 6
	s_cbranch_scc0 .LBB22_544
; %bb.542:
	global_load_dwordx2 v[3:4], v[1:2], off
	s_mov_b32 s1, 0
	s_waitcnt vmcnt(0)
	v_cvt_f32_f64_e32 v3, v[3:4]
	s_branch .LBB22_545
.LBB22_543:
	s_mov_b32 s1, -1
                                        ; implicit-def: $vgpr3
	s_branch .LBB22_548
.LBB22_544:
	s_mov_b32 s1, -1
                                        ; implicit-def: $vgpr3
.LBB22_545:
	s_andn2_b32 vcc_lo, exec_lo, s1
	s_cbranch_vccnz .LBB22_547
; %bb.546:
	global_load_dword v3, v[1:2], off
.LBB22_547:
	s_mov_b32 s1, 0
.LBB22_548:
	s_andn2_b32 vcc_lo, exec_lo, s1
	s_cbranch_vccnz .LBB22_550
; %bb.549:
	global_load_ushort v3, v[1:2], off
	s_waitcnt vmcnt(0)
	v_cvt_f32_f16_e32 v3, v3
.LBB22_550:
	s_mov_b32 s1, 0
.LBB22_551:
	s_andn2_b32 vcc_lo, exec_lo, s1
	s_cbranch_vccnz .LBB22_571
; %bb.552:
	s_cmp_lt_i32 s0, 2
	s_cbranch_scc1 .LBB22_556
; %bb.553:
	s_cmp_lt_i32 s0, 3
	s_cbranch_scc1 .LBB22_557
; %bb.554:
	s_cmp_gt_i32 s0, 3
	s_cbranch_scc0 .LBB22_558
; %bb.555:
	global_load_dwordx2 v[3:4], v[1:2], off
	s_mov_b32 s1, 0
	s_waitcnt vmcnt(0)
	v_xor_b32_e32 v5, v3, v4
	v_ffbh_i32_e32 v6, v4
	v_ashrrev_i32_e32 v5, 31, v5
	v_add_nc_u32_e32 v6, -1, v6
	v_add_nc_u32_e32 v5, 32, v5
	v_min_u32_e32 v5, v6, v5
	v_lshlrev_b64 v[3:4], v5, v[3:4]
	v_min_u32_e32 v3, 1, v3
	v_or_b32_e32 v3, v4, v3
	v_sub_nc_u32_e32 v4, 32, v5
	v_cvt_f32_i32_e32 v3, v3
	v_ldexp_f32 v3, v3, v4
	s_branch .LBB22_559
.LBB22_556:
	s_mov_b32 s1, -1
                                        ; implicit-def: $vgpr3
	s_branch .LBB22_565
.LBB22_557:
	s_mov_b32 s1, -1
                                        ; implicit-def: $vgpr3
	s_branch .LBB22_562
.LBB22_558:
	s_mov_b32 s1, -1
                                        ; implicit-def: $vgpr3
.LBB22_559:
	s_andn2_b32 vcc_lo, exec_lo, s1
	s_cbranch_vccnz .LBB22_561
; %bb.560:
	global_load_dword v3, v[1:2], off
	s_waitcnt vmcnt(0)
	v_cvt_f32_i32_e32 v3, v3
.LBB22_561:
	s_mov_b32 s1, 0
.LBB22_562:
	s_andn2_b32 vcc_lo, exec_lo, s1
	s_cbranch_vccnz .LBB22_564
; %bb.563:
	global_load_sshort v3, v[1:2], off
	s_waitcnt vmcnt(0)
	v_cvt_f32_i32_e32 v3, v3
.LBB22_564:
	s_mov_b32 s1, 0
.LBB22_565:
	s_andn2_b32 vcc_lo, exec_lo, s1
	s_cbranch_vccnz .LBB22_571
; %bb.566:
	s_cmp_gt_i32 s0, 0
	s_mov_b32 s0, 0
	s_cbranch_scc0 .LBB22_568
; %bb.567:
	global_load_sbyte v3, v[1:2], off
	s_waitcnt vmcnt(0)
	v_cvt_f32_i32_e32 v3, v3
	s_branch .LBB22_569
.LBB22_568:
	s_mov_b32 s0, -1
                                        ; implicit-def: $vgpr3
.LBB22_569:
	s_andn2_b32 vcc_lo, exec_lo, s0
	s_cbranch_vccnz .LBB22_571
; %bb.570:
	global_load_ubyte v1, v[1:2], off
	s_waitcnt vmcnt(0)
	v_cvt_f32_ubyte0_e32 v3, v1
.LBB22_571:
	s_branch .LBB22_310
.LBB22_572:
	s_mov_b32 s1, 0
	s_mov_b32 s0, s36
.LBB22_573:
                                        ; implicit-def: $vgpr8
.LBB22_574:
	s_andn2_b32 s2, s36, exec_lo
	s_and_b32 s0, s0, exec_lo
	s_andn2_b32 s39, s37, exec_lo
	s_and_b32 s3, s3, exec_lo
	s_or_b32 s40, s2, s0
	s_or_b32 s39, s39, s3
	s_orn2_b32 s0, s1, exec_lo
.LBB22_575:
	s_or_b32 exec_lo, exec_lo, s41
	s_mov_b32 s1, 0
	s_mov_b32 s2, 0
	;; [unrolled: 1-line block ×3, first 2 shown]
                                        ; implicit-def: $vgpr1_vgpr2
                                        ; implicit-def: $vgpr0
                                        ; implicit-def: $vgpr5
	s_and_saveexec_b32 s41, s0
	s_cbranch_execz .LBB22_968
; %bb.576:
	s_mov_b32 s3, -1
	s_mov_b32 s43, s39
	s_mov_b32 s44, s40
	s_mov_b32 s42, exec_lo
	v_cmpx_gt_i32_e64 s33, v8
	s_cbranch_execz .LBB22_867
; %bb.577:
	s_andn2_b32 vcc_lo, exec_lo, s27
	s_cbranch_vccnz .LBB22_582
; %bb.578:
	s_andn2_b32 vcc_lo, exec_lo, s34
	s_cbranch_vccnz .LBB22_583
; %bb.579:
	s_add_i32 s44, s35, 1
	s_cmp_eq_u32 s25, 2
	s_cbranch_scc1 .LBB22_584
; %bb.580:
	v_mov_b32_e32 v2, 0
	v_mov_b32_e32 v0, 0
	;; [unrolled: 1-line block ×3, first 2 shown]
	s_and_b32 s43, s44, 28
	s_mov_b32 s45, 0
	s_mov_b64 s[0:1], s[6:7]
	s_mov_b64 s[2:3], s[22:23]
.LBB22_581:                             ; =>This Inner Loop Header: Depth=1
	s_clause 0x1
	s_load_dwordx8 s[48:55], s[0:1], 0x4
	s_load_dwordx4 s[64:67], s[0:1], 0x24
	s_load_dwordx8 s[56:63], s[2:3], 0x0
	s_add_u32 s0, s0, 48
	s_addc_u32 s1, s1, 0
	s_add_i32 s45, s45, 4
	s_add_u32 s2, s2, 32
	s_addc_u32 s3, s3, 0
	s_cmp_eq_u32 s43, s45
	s_waitcnt vmcnt(0) lgkmcnt(0)
	v_mul_hi_u32 v3, s49, v1
	v_add_nc_u32_e32 v3, v1, v3
	v_lshrrev_b32_e32 v3, s50, v3
	v_mul_hi_u32 v4, s52, v3
	v_mul_lo_u32 v6, v3, s48
	v_add_nc_u32_e32 v4, v3, v4
	v_sub_nc_u32_e32 v1, v1, v6
	v_lshrrev_b32_e32 v4, s53, v4
	v_mul_lo_u32 v6, v1, s56
	v_mul_lo_u32 v9, v1, s57
	v_mul_hi_u32 v5, s55, v4
	v_add_nc_u32_e32 v5, v4, v5
	v_lshrrev_b32_e32 v5, s64, v5
	v_mul_hi_u32 v7, s66, v5
	v_mul_lo_u32 v10, v5, s54
	v_add_nc_u32_e32 v1, v5, v7
	v_mul_lo_u32 v7, v4, s51
	v_sub_nc_u32_e32 v4, v4, v10
	v_lshrrev_b32_e32 v1, s67, v1
	v_mul_lo_u32 v10, v4, s60
	v_mul_lo_u32 v4, v4, s61
	v_sub_nc_u32_e32 v3, v3, v7
	v_mul_lo_u32 v11, v1, s65
	v_mul_lo_u32 v7, v3, s58
	;; [unrolled: 1-line block ×3, first 2 shown]
	v_sub_nc_u32_e32 v5, v5, v11
	v_add3_u32 v0, v6, v0, v7
	v_mul_lo_u32 v11, v5, s62
	v_mul_lo_u32 v5, v5, s63
	v_add3_u32 v2, v9, v2, v3
	v_add3_u32 v0, v10, v0, v11
	;; [unrolled: 1-line block ×3, first 2 shown]
	s_cbranch_scc0 .LBB22_581
	s_branch .LBB22_585
.LBB22_582:
	s_mov_b32 s0, -1
                                        ; implicit-def: $vgpr0
                                        ; implicit-def: $vgpr2
	s_branch .LBB22_589
.LBB22_583:
	v_mov_b32_e32 v0, 0
	v_mov_b32_e32 v2, 0
	s_branch .LBB22_588
.LBB22_584:
	v_mov_b32_e32 v0, 0
	v_mov_b32_e32 v2, 0
	;; [unrolled: 1-line block ×3, first 2 shown]
	s_mov_b32 s43, 0
.LBB22_585:
	s_and_b32 s44, s44, 3
	s_cmp_eq_u32 s44, 0
	s_cbranch_scc1 .LBB22_588
; %bb.586:
	s_lshl_b32 s0, s43, 3
	s_mul_i32 s2, s43, 12
	s_add_u32 s0, s6, s0
	s_addc_u32 s1, s7, 0
	s_add_u32 s0, s0, 0xc4
	s_addc_u32 s1, s1, 0
	;; [unrolled: 2-line block ×3, first 2 shown]
	.p2align	6
.LBB22_587:                             ; =>This Inner Loop Header: Depth=1
	s_clause 0x1
	s_load_dwordx2 s[46:47], s[2:3], 0x4
	s_load_dword s43, s[2:3], 0xc
	s_load_dwordx2 s[48:49], s[0:1], 0x0
	s_add_u32 s2, s2, 12
	s_addc_u32 s3, s3, 0
	s_add_u32 s0, s0, 8
	s_addc_u32 s1, s1, 0
	s_add_i32 s44, s44, -1
	s_cmp_lg_u32 s44, 0
	s_waitcnt vmcnt(0) lgkmcnt(0)
	v_mul_hi_u32 v3, s47, v1
	v_add_nc_u32_e32 v3, v1, v3
	v_lshrrev_b32_e32 v4, s43, v3
	v_mul_lo_u32 v3, v4, s46
	v_sub_nc_u32_e32 v3, v1, v3
	v_mad_u64_u32 v[0:1], null, v3, s48, v[0:1]
	v_mad_u64_u32 v[2:3], null, v3, s49, v[2:3]
	v_mov_b32_e32 v1, v4
	s_cbranch_scc1 .LBB22_587
.LBB22_588:
	s_mov_b32 s0, 0
.LBB22_589:
	s_andn2_b32 vcc_lo, exec_lo, s0
	s_cbranch_vccnz .LBB22_592
; %bb.590:
	s_waitcnt lgkmcnt(0)
	v_mul_hi_u32 v0, s17, v8
	s_andn2_b32 vcc_lo, exec_lo, s31
	v_add_nc_u32_e32 v0, v8, v0
	v_lshrrev_b32_e32 v1, s18, v0
	v_mul_lo_u32 v0, v1, s16
	v_sub_nc_u32_e32 v2, v8, v0
	v_mul_lo_u32 v0, v2, s12
	v_mul_lo_u32 v2, v2, s13
	s_cbranch_vccnz .LBB22_592
; %bb.591:
	s_waitcnt vmcnt(0)
	v_mul_hi_u32 v3, s20, v1
	v_add_nc_u32_e32 v3, v1, v3
	v_lshrrev_b32_e32 v3, s21, v3
	v_mul_lo_u32 v3, v3, s19
	v_sub_nc_u32_e32 v3, v1, v3
	v_mad_u64_u32 v[0:1], null, v3, s14, v[0:1]
	v_mad_u64_u32 v[2:3], null, v3, s15, v[2:3]
.LBB22_592:
	s_waitcnt lgkmcnt(0)
	v_add_co_u32 v1, s0, s10, v2
	v_add_co_ci_u32_e64 v2, null, s11, 0, s0
	s_and_b32 s0, 0xffff, s30
	s_cmp_lt_i32 s0, 11
	s_cbranch_scc1 .LBB22_599
; %bb.593:
	s_cmp_gt_i32 s0, 25
	s_cbranch_scc0 .LBB22_600
; %bb.594:
	s_cmp_gt_i32 s0, 28
	s_cbranch_scc0 .LBB22_601
	;; [unrolled: 3-line block ×4, first 2 shown]
; %bb.597:
	s_cmp_eq_u32 s0, 46
	s_mov_b32 s2, 0
	s_cbranch_scc0 .LBB22_608
; %bb.598:
	global_load_dword v3, v[1:2], off
	s_mov_b32 s1, -1
	s_mov_b32 s3, 0
	s_waitcnt vmcnt(0)
	v_lshlrev_b32_e32 v3, 16, v3
	s_branch .LBB22_610
.LBB22_599:
	s_mov_b32 s2, -1
	s_mov_b32 s1, 0
	s_mov_b32 s3, s39
                                        ; implicit-def: $vgpr3
	s_branch .LBB22_675
.LBB22_600:
	s_mov_b32 s2, -1
	s_mov_b32 s1, 0
	s_mov_b32 s3, s39
                                        ; implicit-def: $vgpr3
	s_branch .LBB22_639
.LBB22_601:
	s_mov_b32 s2, -1
	s_mov_b32 s1, 0
	s_mov_b32 s3, s39
                                        ; implicit-def: $vgpr3
	s_branch .LBB22_620
.LBB22_602:
	s_mov_b32 s2, -1
	s_mov_b32 s1, 0
	s_mov_b32 s3, s39
                                        ; implicit-def: $vgpr3
	s_branch .LBB22_615
.LBB22_603:
	s_andn2_saveexec_b32 s42, s42
	s_cbranch_execz .LBB22_372
.LBB22_604:
	v_add_f32_e64 v0, 0x46000000, |v1|
	s_andn2_b32 s40, s40, exec_lo
	v_and_b32_e32 v0, 0xff, v0
	v_cmp_ne_u32_e32 vcc_lo, 0, v0
	s_and_b32 s43, vcc_lo, exec_lo
	s_or_b32 s40, s40, s43
	s_or_b32 exec_lo, exec_lo, s42
	v_mov_b32_e32 v2, 0
	s_and_saveexec_b32 s42, s40
	s_cbranch_execnz .LBB22_373
	s_branch .LBB22_374
.LBB22_605:
	s_mov_b32 s2, -1
	s_mov_b32 s1, 0
	s_mov_b32 s3, s39
	s_branch .LBB22_609
.LBB22_606:
	s_andn2_saveexec_b32 s42, s42
	s_cbranch_execz .LBB22_385
.LBB22_607:
	v_add_f32_e64 v0, 0x42800000, |v1|
	s_andn2_b32 s40, s40, exec_lo
	v_and_b32_e32 v0, 0xff, v0
	v_cmp_ne_u32_e32 vcc_lo, 0, v0
	s_and_b32 s43, vcc_lo, exec_lo
	s_or_b32 s40, s40, s43
	s_or_b32 exec_lo, exec_lo, s42
	v_mov_b32_e32 v2, 0
	s_and_saveexec_b32 s42, s40
	s_cbranch_execnz .LBB22_386
	s_branch .LBB22_387
.LBB22_608:
	s_mov_b32 s3, -1
	s_mov_b32 s1, 0
.LBB22_609:
                                        ; implicit-def: $vgpr3
.LBB22_610:
	s_and_b32 vcc_lo, exec_lo, s2
	s_cbranch_vccz .LBB22_614
; %bb.611:
	s_cmp_eq_u32 s0, 44
	s_cbranch_scc0 .LBB22_613
; %bb.612:
	global_load_ubyte v3, v[1:2], off
	s_mov_b32 s3, 0
	s_mov_b32 s1, -1
	s_waitcnt vmcnt(0)
	v_lshlrev_b32_e32 v4, 23, v3
	v_cmp_ne_u32_e32 vcc_lo, 0xff, v3
	v_cndmask_b32_e32 v4, 0x7f800001, v4, vcc_lo
	v_cmp_ne_u32_e32 vcc_lo, 0, v3
	v_cndmask_b32_e32 v3, 0x400000, v4, vcc_lo
	s_branch .LBB22_614
.LBB22_613:
	s_mov_b32 s3, -1
                                        ; implicit-def: $vgpr3
.LBB22_614:
	s_mov_b32 s2, 0
.LBB22_615:
	s_and_b32 vcc_lo, exec_lo, s2
	s_cbranch_vccz .LBB22_619
; %bb.616:
	s_cmp_eq_u32 s0, 29
	s_cbranch_scc0 .LBB22_618
; %bb.617:
	global_load_dwordx2 v[3:4], v[1:2], off
	s_mov_b32 s1, -1
	s_mov_b32 s3, 0
	s_mov_b32 s2, 0
	s_waitcnt vmcnt(0)
	v_ffbh_u32_e32 v5, v4
	v_min_u32_e32 v5, 32, v5
	v_lshlrev_b64 v[3:4], v5, v[3:4]
	v_min_u32_e32 v3, 1, v3
	v_or_b32_e32 v3, v4, v3
	v_sub_nc_u32_e32 v4, 32, v5
	v_cvt_f32_u32_e32 v3, v3
	v_ldexp_f32 v3, v3, v4
	s_branch .LBB22_620
.LBB22_618:
	s_mov_b32 s3, -1
                                        ; implicit-def: $vgpr3
.LBB22_619:
	s_mov_b32 s2, 0
.LBB22_620:
	s_and_b32 vcc_lo, exec_lo, s2
	s_cbranch_vccz .LBB22_638
; %bb.621:
	s_cmp_lt_i32 s0, 27
	s_cbranch_scc1 .LBB22_624
; %bb.622:
	s_cmp_gt_i32 s0, 27
	s_cbranch_scc0 .LBB22_625
; %bb.623:
	global_load_dword v3, v[1:2], off
	s_mov_b32 s1, 0
	s_waitcnt vmcnt(0)
	v_cvt_f32_u32_e32 v3, v3
	s_branch .LBB22_626
.LBB22_624:
	s_mov_b32 s1, -1
                                        ; implicit-def: $vgpr3
	s_branch .LBB22_629
.LBB22_625:
	s_mov_b32 s1, -1
                                        ; implicit-def: $vgpr3
.LBB22_626:
	s_andn2_b32 vcc_lo, exec_lo, s1
	s_cbranch_vccnz .LBB22_628
; %bb.627:
	global_load_ushort v3, v[1:2], off
	s_waitcnt vmcnt(0)
	v_cvt_f32_u32_e32 v3, v3
.LBB22_628:
	s_mov_b32 s1, 0
.LBB22_629:
	s_andn2_b32 vcc_lo, exec_lo, s1
	s_cbranch_vccnz .LBB22_637
; %bb.630:
	global_load_ubyte v4, v[1:2], off
	s_mov_b32 s1, 0
	s_mov_b32 s2, exec_lo
	s_waitcnt vmcnt(0)
	v_cmpx_lt_i16_e32 0x7f, v4
	s_xor_b32 s2, exec_lo, s2
	s_cbranch_execz .LBB22_651
; %bb.631:
	s_mov_b32 s1, -1
	s_mov_b32 s43, exec_lo
	v_cmpx_eq_u16_e32 0x80, v4
; %bb.632:
	s_xor_b32 s1, exec_lo, -1
; %bb.633:
	s_or_b32 exec_lo, exec_lo, s43
	s_and_b32 s1, s1, exec_lo
	s_or_saveexec_b32 s2, s2
	v_mov_b32_e32 v3, 0x7f800001
	s_xor_b32 exec_lo, exec_lo, s2
	s_cbranch_execnz .LBB22_652
.LBB22_634:
	s_or_b32 exec_lo, exec_lo, s2
	s_and_saveexec_b32 s2, s1
	s_cbranch_execz .LBB22_636
.LBB22_635:
	v_and_b32_e32 v3, 0xffff, v4
	v_lshlrev_b32_e32 v4, 24, v4
	v_and_b32_e32 v5, 7, v3
	v_bfe_u32 v9, v3, 3, 4
	v_and_b32_e32 v4, 0x80000000, v4
	v_ffbh_u32_e32 v6, v5
	v_cmp_eq_u32_e32 vcc_lo, 0, v9
	v_min_u32_e32 v6, 32, v6
	v_subrev_nc_u32_e32 v7, 28, v6
	v_sub_nc_u32_e32 v6, 29, v6
	v_lshlrev_b32_e32 v3, v7, v3
	v_cndmask_b32_e32 v6, v9, v6, vcc_lo
	v_and_b32_e32 v3, 7, v3
	v_cndmask_b32_e32 v3, v5, v3, vcc_lo
	v_lshl_add_u32 v5, v6, 23, 0x3b800000
	v_lshlrev_b32_e32 v3, 20, v3
	v_or3_b32 v3, v4, v5, v3
.LBB22_636:
	s_or_b32 exec_lo, exec_lo, s2
.LBB22_637:
	s_mov_b32 s1, -1
.LBB22_638:
	s_mov_b32 s2, 0
.LBB22_639:
	s_and_b32 vcc_lo, exec_lo, s2
	s_cbranch_vccz .LBB22_674
; %bb.640:
	s_cmp_gt_i32 s0, 22
	s_cbranch_scc0 .LBB22_650
; %bb.641:
	s_cmp_lt_i32 s0, 24
	s_cbranch_scc1 .LBB22_653
; %bb.642:
	s_cmp_gt_i32 s0, 24
	s_cbranch_scc0 .LBB22_654
; %bb.643:
	global_load_ubyte v4, v[1:2], off
	s_mov_b32 s1, 0
	s_mov_b32 s2, exec_lo
	s_waitcnt vmcnt(0)
	v_cmpx_lt_i16_e32 0x7f, v4
	s_xor_b32 s2, exec_lo, s2
	s_cbranch_execz .LBB22_666
; %bb.644:
	s_mov_b32 s1, -1
	s_mov_b32 s43, exec_lo
	v_cmpx_eq_u16_e32 0x80, v4
; %bb.645:
	s_xor_b32 s1, exec_lo, -1
; %bb.646:
	s_or_b32 exec_lo, exec_lo, s43
	s_and_b32 s1, s1, exec_lo
	s_or_saveexec_b32 s2, s2
	v_mov_b32_e32 v3, 0x7f800001
	s_xor_b32 exec_lo, exec_lo, s2
	s_cbranch_execnz .LBB22_667
.LBB22_647:
	s_or_b32 exec_lo, exec_lo, s2
	s_and_saveexec_b32 s2, s1
	s_cbranch_execz .LBB22_649
.LBB22_648:
	v_and_b32_e32 v3, 0xffff, v4
	v_lshlrev_b32_e32 v4, 24, v4
	v_and_b32_e32 v5, 3, v3
	v_bfe_u32 v9, v3, 2, 5
	v_and_b32_e32 v4, 0x80000000, v4
	v_ffbh_u32_e32 v6, v5
	v_cmp_eq_u32_e32 vcc_lo, 0, v9
	v_min_u32_e32 v6, 32, v6
	v_subrev_nc_u32_e32 v7, 29, v6
	v_sub_nc_u32_e32 v6, 30, v6
	v_lshlrev_b32_e32 v3, v7, v3
	v_cndmask_b32_e32 v6, v9, v6, vcc_lo
	v_and_b32_e32 v3, 3, v3
	v_cndmask_b32_e32 v3, v5, v3, vcc_lo
	v_lshl_add_u32 v5, v6, 23, 0x37800000
	v_lshlrev_b32_e32 v3, 21, v3
	v_or3_b32 v3, v4, v5, v3
.LBB22_649:
	s_or_b32 exec_lo, exec_lo, s2
	s_mov_b32 s1, 0
	s_branch .LBB22_655
.LBB22_650:
	s_mov_b32 s2, -1
                                        ; implicit-def: $vgpr3
	s_branch .LBB22_661
.LBB22_651:
	s_or_saveexec_b32 s2, s2
	v_mov_b32_e32 v3, 0x7f800001
	s_xor_b32 exec_lo, exec_lo, s2
	s_cbranch_execz .LBB22_634
.LBB22_652:
	v_cmp_ne_u16_e32 vcc_lo, 0, v4
	v_mov_b32_e32 v3, 0
	s_andn2_b32 s1, s1, exec_lo
	s_and_b32 s43, vcc_lo, exec_lo
	s_or_b32 s1, s1, s43
	s_or_b32 exec_lo, exec_lo, s2
	s_and_saveexec_b32 s2, s1
	s_cbranch_execnz .LBB22_635
	s_branch .LBB22_636
.LBB22_653:
	s_mov_b32 s1, -1
                                        ; implicit-def: $vgpr3
	s_branch .LBB22_658
.LBB22_654:
	s_mov_b32 s1, -1
                                        ; implicit-def: $vgpr3
.LBB22_655:
	s_and_b32 vcc_lo, exec_lo, s1
	s_cbranch_vccz .LBB22_657
; %bb.656:
	global_load_ubyte v3, v[1:2], off
	s_waitcnt vmcnt(0)
	v_lshlrev_b32_e32 v3, 24, v3
	v_and_b32_e32 v4, 0x7f000000, v3
	v_ffbh_u32_e32 v5, v4
	v_add_nc_u32_e32 v7, 0x1000000, v4
	v_cmp_ne_u32_e32 vcc_lo, 0, v4
	v_min_u32_e32 v5, 32, v5
	v_sub_nc_u32_e64 v5, v5, 4 clamp
	v_lshlrev_b32_e32 v6, v5, v4
	v_lshlrev_b32_e32 v5, 23, v5
	v_lshrrev_b32_e32 v6, 4, v6
	v_sub_nc_u32_e32 v5, v6, v5
	v_ashrrev_i32_e32 v6, 8, v7
	v_add_nc_u32_e32 v5, 0x3c000000, v5
	v_and_or_b32 v5, 0x7f800000, v6, v5
	v_cndmask_b32_e32 v4, 0, v5, vcc_lo
	v_and_or_b32 v3, 0x80000000, v3, v4
.LBB22_657:
	s_mov_b32 s1, 0
.LBB22_658:
	s_andn2_b32 vcc_lo, exec_lo, s1
	s_cbranch_vccnz .LBB22_660
; %bb.659:
	global_load_ubyte v3, v[1:2], off
	s_waitcnt vmcnt(0)
	v_lshlrev_b32_e32 v4, 25, v3
	v_lshlrev_b16 v3, 8, v3
	v_lshrrev_b32_e32 v5, 4, v4
	v_and_or_b32 v6, 0x7f00, v3, 0.5
	v_cmp_gt_u32_e32 vcc_lo, 0x8000000, v4
	v_bfe_i32 v3, v3, 0, 16
	v_or_b32_e32 v5, 0x70000000, v5
	v_add_f32_e32 v6, -0.5, v6
	v_mul_f32_e32 v5, 0x7800000, v5
	v_cndmask_b32_e32 v4, v5, v6, vcc_lo
	v_and_or_b32 v3, 0x80000000, v3, v4
.LBB22_660:
	s_mov_b32 s2, 0
	s_mov_b32 s1, -1
.LBB22_661:
	s_andn2_b32 vcc_lo, exec_lo, s2
	s_cbranch_vccnz .LBB22_674
; %bb.662:
	s_cmp_gt_i32 s0, 14
	s_cbranch_scc0 .LBB22_665
; %bb.663:
	s_cmp_eq_u32 s0, 15
	s_cbranch_scc0 .LBB22_668
; %bb.664:
	global_load_ushort v3, v[1:2], off
	s_mov_b32 s1, -1
	s_mov_b32 s3, 0
	s_waitcnt vmcnt(0)
	v_lshlrev_b32_e32 v3, 16, v3
	s_branch .LBB22_669
.LBB22_665:
	s_mov_b32 s2, -1
                                        ; implicit-def: $vgpr3
	s_branch .LBB22_670
.LBB22_666:
	s_or_saveexec_b32 s2, s2
	v_mov_b32_e32 v3, 0x7f800001
	s_xor_b32 exec_lo, exec_lo, s2
	s_cbranch_execz .LBB22_647
.LBB22_667:
	v_cmp_ne_u16_e32 vcc_lo, 0, v4
	v_mov_b32_e32 v3, 0
	s_andn2_b32 s1, s1, exec_lo
	s_and_b32 s43, vcc_lo, exec_lo
	s_or_b32 s1, s1, s43
	s_or_b32 exec_lo, exec_lo, s2
	s_and_saveexec_b32 s2, s1
	s_cbranch_execnz .LBB22_648
	s_branch .LBB22_649
.LBB22_668:
	s_mov_b32 s3, -1
                                        ; implicit-def: $vgpr3
.LBB22_669:
	s_mov_b32 s2, 0
.LBB22_670:
	s_and_b32 vcc_lo, exec_lo, s2
	s_cbranch_vccz .LBB22_674
; %bb.671:
	s_cmp_eq_u32 s0, 11
	s_cbranch_scc0 .LBB22_673
; %bb.672:
	global_load_ubyte v3, v[1:2], off
	s_mov_b32 s3, 0
	s_mov_b32 s1, -1
	s_waitcnt vmcnt(0)
	v_cmp_ne_u16_e32 vcc_lo, 0, v3
	v_cndmask_b32_e64 v3, 0, 1.0, vcc_lo
	s_branch .LBB22_674
.LBB22_673:
	s_mov_b32 s3, -1
                                        ; implicit-def: $vgpr3
.LBB22_674:
	s_mov_b32 s2, 0
.LBB22_675:
	s_and_b32 vcc_lo, exec_lo, s2
	s_cbranch_vccz .LBB22_724
; %bb.676:
	s_cmp_lt_i32 s0, 5
	s_cbranch_scc1 .LBB22_681
; %bb.677:
	s_cmp_lt_i32 s0, 8
	s_cbranch_scc1 .LBB22_682
; %bb.678:
	s_cmp_lt_i32 s0, 9
	s_cbranch_scc1 .LBB22_683
; %bb.679:
	s_cmp_gt_i32 s0, 9
	s_cbranch_scc0 .LBB22_684
; %bb.680:
	global_load_dwordx2 v[3:4], v[1:2], off
	s_mov_b32 s1, 0
	s_waitcnt vmcnt(0)
	v_cvt_f32_f64_e32 v3, v[3:4]
	s_branch .LBB22_685
.LBB22_681:
	s_mov_b32 s1, -1
                                        ; implicit-def: $vgpr3
	s_branch .LBB22_703
.LBB22_682:
	s_mov_b32 s1, -1
                                        ; implicit-def: $vgpr3
	s_branch .LBB22_691
.LBB22_683:
	s_mov_b32 s1, -1
                                        ; implicit-def: $vgpr3
	s_branch .LBB22_688
.LBB22_684:
	s_mov_b32 s1, -1
                                        ; implicit-def: $vgpr3
.LBB22_685:
	s_andn2_b32 vcc_lo, exec_lo, s1
	s_cbranch_vccnz .LBB22_687
; %bb.686:
	global_load_dword v3, v[1:2], off
.LBB22_687:
	s_mov_b32 s1, 0
.LBB22_688:
	s_andn2_b32 vcc_lo, exec_lo, s1
	s_cbranch_vccnz .LBB22_690
; %bb.689:
	global_load_dword v3, v[1:2], off
	s_waitcnt vmcnt(0)
	v_cvt_f32_f16_e32 v3, v3
.LBB22_690:
	s_mov_b32 s1, 0
.LBB22_691:
	s_andn2_b32 vcc_lo, exec_lo, s1
	s_cbranch_vccnz .LBB22_702
; %bb.692:
	s_cmp_lt_i32 s0, 6
	s_cbranch_scc1 .LBB22_695
; %bb.693:
	s_cmp_gt_i32 s0, 6
	s_cbranch_scc0 .LBB22_696
; %bb.694:
	global_load_dwordx2 v[3:4], v[1:2], off
	s_mov_b32 s1, 0
	s_waitcnt vmcnt(0)
	v_cvt_f32_f64_e32 v3, v[3:4]
	s_branch .LBB22_697
.LBB22_695:
	s_mov_b32 s1, -1
                                        ; implicit-def: $vgpr3
	s_branch .LBB22_700
.LBB22_696:
	s_mov_b32 s1, -1
                                        ; implicit-def: $vgpr3
.LBB22_697:
	s_andn2_b32 vcc_lo, exec_lo, s1
	s_cbranch_vccnz .LBB22_699
; %bb.698:
	global_load_dword v3, v[1:2], off
.LBB22_699:
	s_mov_b32 s1, 0
.LBB22_700:
	s_andn2_b32 vcc_lo, exec_lo, s1
	s_cbranch_vccnz .LBB22_702
; %bb.701:
	global_load_ushort v3, v[1:2], off
	s_waitcnt vmcnt(0)
	v_cvt_f32_f16_e32 v3, v3
.LBB22_702:
	s_mov_b32 s1, 0
.LBB22_703:
	s_andn2_b32 vcc_lo, exec_lo, s1
	s_cbranch_vccnz .LBB22_723
; %bb.704:
	s_cmp_lt_i32 s0, 2
	s_cbranch_scc1 .LBB22_708
; %bb.705:
	s_cmp_lt_i32 s0, 3
	s_cbranch_scc1 .LBB22_709
; %bb.706:
	s_cmp_gt_i32 s0, 3
	s_cbranch_scc0 .LBB22_710
; %bb.707:
	global_load_dwordx2 v[3:4], v[1:2], off
	s_mov_b32 s1, 0
	s_waitcnt vmcnt(0)
	v_xor_b32_e32 v5, v3, v4
	v_ffbh_i32_e32 v6, v4
	v_ashrrev_i32_e32 v5, 31, v5
	v_add_nc_u32_e32 v6, -1, v6
	v_add_nc_u32_e32 v5, 32, v5
	v_min_u32_e32 v5, v6, v5
	v_lshlrev_b64 v[3:4], v5, v[3:4]
	v_min_u32_e32 v3, 1, v3
	v_or_b32_e32 v3, v4, v3
	v_sub_nc_u32_e32 v4, 32, v5
	v_cvt_f32_i32_e32 v3, v3
	v_ldexp_f32 v3, v3, v4
	s_branch .LBB22_711
.LBB22_708:
	s_mov_b32 s1, -1
                                        ; implicit-def: $vgpr3
	s_branch .LBB22_717
.LBB22_709:
	s_mov_b32 s1, -1
                                        ; implicit-def: $vgpr3
	s_branch .LBB22_714
.LBB22_710:
	s_mov_b32 s1, -1
                                        ; implicit-def: $vgpr3
.LBB22_711:
	s_andn2_b32 vcc_lo, exec_lo, s1
	s_cbranch_vccnz .LBB22_713
; %bb.712:
	global_load_dword v3, v[1:2], off
	s_waitcnt vmcnt(0)
	v_cvt_f32_i32_e32 v3, v3
.LBB22_713:
	s_mov_b32 s1, 0
.LBB22_714:
	s_andn2_b32 vcc_lo, exec_lo, s1
	s_cbranch_vccnz .LBB22_716
; %bb.715:
	global_load_sshort v3, v[1:2], off
	s_waitcnt vmcnt(0)
	v_cvt_f32_i32_e32 v3, v3
.LBB22_716:
	s_mov_b32 s1, 0
.LBB22_717:
	s_andn2_b32 vcc_lo, exec_lo, s1
	s_cbranch_vccnz .LBB22_723
; %bb.718:
	s_cmp_gt_i32 s0, 0
	s_mov_b32 s0, 0
	s_cbranch_scc0 .LBB22_720
; %bb.719:
	global_load_sbyte v3, v[1:2], off
	s_waitcnt vmcnt(0)
	v_cvt_f32_i32_e32 v3, v3
	s_branch .LBB22_721
.LBB22_720:
	s_mov_b32 s0, -1
                                        ; implicit-def: $vgpr3
.LBB22_721:
	s_andn2_b32 vcc_lo, exec_lo, s0
	s_cbranch_vccnz .LBB22_723
; %bb.722:
	global_load_ubyte v1, v[1:2], off
	s_waitcnt vmcnt(0)
	v_cvt_f32_ubyte0_e32 v3, v1
.LBB22_723:
	s_mov_b32 s1, -1
.LBB22_724:
	s_andn2_b32 vcc_lo, exec_lo, s1
	s_cbranch_vccnz .LBB22_734
; %bb.725:
                                        ; implicit-def: $vgpr1
	s_mov_b32 s0, exec_lo
	s_waitcnt vmcnt(0)
	v_cmpx_ge_f32_e32 0x40a00000, v3
	s_xor_b32 s43, exec_lo, s0
	s_cbranch_execz .LBB22_731
; %bb.726:
	v_mov_b32_e32 v1, 0xff800000
	s_mov_b32 s44, exec_lo
	v_cmpx_neq_f32_e32 0, v3
	s_cbranch_execz .LBB22_730
; %bb.727:
	v_mov_b32_e32 v1, 0x7fc00000
	s_mov_b32 s45, exec_lo
	v_cmpx_nge_f32_e32 0, v3
	s_cbranch_execz .LBB22_729
; %bb.728:
	v_mul_f32_e32 v1, v3, v3
	v_cmp_gt_f32_e64 s0, 0x800000, v3
	v_div_scale_f32 v12, null, v3, v3, -1.0
	v_div_scale_f32 v21, s2, -1.0, v3, -1.0
	v_fmaak_f32 v2, 0, v1, 0x4414934d
	v_fmaak_f32 v4, 0, v1, 0x441b3589
	v_fmaak_f32 v5, 0, v1, 0x4e9695f3
	v_fmaak_f32 v6, 0, v1, 0xce5691e2
	v_cndmask_b32_e64 v11, 0, 32, s0
	v_fmaak_f32 v2, v1, v2, 0x48660b06
	v_fmaak_f32 v4, v1, v4, 0x487af6d0
	;; [unrolled: 1-line block ×4, first 2 shown]
	v_rcp_f32_e32 v13, v12
	v_fmaak_f32 v2, v1, v2, 0x4c8c277d
	v_fmaak_f32 v4, v1, v4, 0x4c9f4aa7
	;; [unrolled: 1-line block ×4, first 2 shown]
	v_ldexp_f32 v11, v3, v11
	v_fmaak_f32 v2, v1, v2, 0x508bc61d
	v_fmaak_f32 v4, v1, v4, 0x50a509fc
	;; [unrolled: 1-line block ×4, first 2 shown]
	v_log_f32_e32 v11, v11
	v_fmaak_f32 v2, v1, v2, 0x5461faf8
	v_fmaak_f32 v4, v1, v4, 0x548a37dc
	;; [unrolled: 1-line block ×3, first 2 shown]
	v_fma_f32 v18, -v12, v13, 1.0
	v_fmaak_f32 v2, v1, v2, 0x580d1937
	v_fmaak_f32 v4, v1, v4, 0x58325852
	;; [unrolled: 1-line block ×3, first 2 shown]
	v_fmac_f32_e32 v13, v18, v13
	v_mul_f32_e32 v22, 0x3f317217, v11
	v_fmaak_f32 v2, v1, v2, 0x5b741f1e
	v_fmaak_f32 v4, v1, v4, 0x5b9f0600
	v_fma_f32 v18, 0x3f317217, v11, -v22
	v_fmaak_f32 v2, v1, v2, 0x5e5c878d
	v_fmaak_f32 v1, v1, v4, 0x5e93bcac
	v_div_scale_f32 v4, null, v2, v2, v5
	v_div_scale_f32 v7, null, v1, v1, v6
	v_div_scale_f32 v16, vcc_lo, v5, v2, v5
	v_rcp_f32_e32 v9, v4
	v_rcp_f32_e32 v10, v7
	v_div_scale_f32 v17, s1, v6, v1, v6
	v_fma_f32 v14, -v4, v9, 1.0
	v_fma_f32 v15, -v7, v10, 1.0
	v_fmac_f32_e32 v9, v14, v9
	v_fmac_f32_e32 v10, v15, v10
	v_mul_f32_e32 v14, v16, v9
	v_mul_f32_e32 v15, v17, v10
	v_fma_f32 v19, -v4, v14, v16
	v_fma_f32 v20, -v7, v15, v17
	v_fmac_f32_e32 v14, v19, v9
	v_fmac_f32_e32 v15, v20, v10
	v_fma_f32 v4, -v4, v14, v16
	v_mul_f32_e32 v16, v21, v13
	v_fma_f32 v7, -v7, v15, v17
	v_div_fmas_f32 v4, v4, v9, v14
	s_mov_b32 vcc_lo, s1
	v_fma_f32 v9, -v12, v16, v21
	v_div_fmas_f32 v7, v7, v10, v15
	v_fmamk_f32 v10, v11, 0x3377d1cf, v18
	v_cmp_gt_f32_e64 vcc_lo, 0x7f800000, |v11|
	v_div_fixup_f32 v2, v4, v2, v5
	v_fmac_f32_e32 v16, v9, v13
	v_div_fixup_f32 v1, v7, v1, v6
	v_fmac_f32_e32 v10, 0x3f317217, v11
	v_fmaak_f32 v6, v3, v3, 0xc16ae95a
	v_fmaak_f32 v7, v3, v3, 0xc244dfb3
	v_fma_f32 v12, -v12, v16, v21
	v_mul_f32_e32 v1, v3, v1
	v_cndmask_b32_e32 v10, v11, v10, vcc_lo
	s_mov_b32 vcc_lo, s2
	v_cndmask_b32_e64 v9, 0, 0x41b17218, s0
	v_mul_f32_e32 v1, v6, v1
	v_div_fmas_f32 v6, v12, v13, v16
	v_sub_f32_e32 v9, v10, v9
	v_mul_f32_e32 v1, v7, v1
	v_div_fixup_f32 v6, v6, v3, -1.0
	v_fmac_f32_e32 v6, v9, v1
	v_mul_f32_e32 v1, 0x3f22f983, v6
	v_fmac_f32_e32 v1, v3, v2
.LBB22_729:
	s_or_b32 exec_lo, exec_lo, s45
.LBB22_730:
	s_or_b32 exec_lo, exec_lo, s44
                                        ; implicit-def: $vgpr3
.LBB22_731:
	s_andn2_saveexec_b32 s43, s43
	s_cbranch_execz .LBB22_742
; %bb.732:
	v_add_f32_e32 v1, 0xc016cbe4, v3
                                        ; implicit-def: $vgpr5
                                        ; implicit-def: $vgpr4
	v_and_b32_e32 v2, 0x7fffffff, v1
	v_cmp_ngt_f32_e64 s2, 0x48000000, |v1|
	s_and_saveexec_b32 s0, s2
	s_xor_b32 s44, exec_lo, s0
	s_cbranch_execz .LBB22_735
; %bb.733:
	s_mov_b32 s0, 0x7fffff
	v_mov_b32_e32 v6, 0
	v_and_or_b32 v7, v2, s0, 0x800000
	v_lshrrev_b32_e32 v13, 23, v2
	v_mad_u64_u32 v[4:5], null, 0xfe5163ab, v7, 0
	v_add_nc_u32_e32 v14, 0xffffff88, v13
	v_cmp_lt_u32_e32 vcc_lo, 63, v14
	v_mad_u64_u32 v[9:10], null, 0x3c439041, v7, v[5:6]
	v_cndmask_b32_e64 v15, 0, 0xffffffc0, vcc_lo
	v_mov_b32_e32 v5, v10
	v_add_nc_u32_e32 v15, v15, v14
	v_mad_u64_u32 v[10:11], null, 0xdb629599, v7, v[5:6]
	v_cmp_lt_u32_e64 s0, 31, v15
	v_cndmask_b32_e64 v16, 0, 0xffffffe0, s0
	v_mov_b32_e32 v5, v11
	v_cndmask_b32_e32 v4, v10, v4, vcc_lo
	v_mad_u64_u32 v[11:12], null, 0xf534ddc0, v7, v[5:6]
	v_mov_b32_e32 v5, v12
	v_cndmask_b32_e32 v9, v11, v9, vcc_lo
	v_mad_u64_u32 v[12:13], null, 0xfc2757d1, v7, v[5:6]
	v_cndmask_b32_e64 v4, v9, v4, s0
	v_mov_b32_e32 v5, v13
	v_mad_u64_u32 v[13:14], null, 0x4e441529, v7, v[5:6]
	v_mov_b32_e32 v5, v14
	v_add_nc_u32_e32 v14, v16, v15
	v_cndmask_b32_e32 v15, v13, v11, vcc_lo
	v_mad_u64_u32 v[5:6], null, 0xa2f9836e, v7, v[5:6]
	v_cmp_lt_u32_e64 s1, 31, v14
	v_cndmask_b32_e64 v7, 0, 0xffffffe0, s1
	v_cndmask_b32_e32 v5, v5, v12, vcc_lo
	v_cndmask_b32_e32 v6, v6, v13, vcc_lo
	;; [unrolled: 1-line block ×3, first 2 shown]
	v_add_nc_u32_e32 v7, v7, v14
	v_cndmask_b32_e64 v11, v5, v15, s0
	v_cndmask_b32_e64 v5, v6, v5, s0
	;; [unrolled: 1-line block ×4, first 2 shown]
	v_sub_nc_u32_e32 v13, 32, v7
	v_cmp_eq_u32_e32 vcc_lo, 0, v7
	v_cndmask_b32_e64 v5, v5, v11, s1
	v_cndmask_b32_e64 v11, v11, v6, s1
	;; [unrolled: 1-line block ×4, first 2 shown]
	v_alignbit_b32 v14, v5, v11, v13
	v_alignbit_b32 v10, v11, v6, v13
	;; [unrolled: 1-line block ×3, first 2 shown]
	v_cndmask_b32_e32 v5, v14, v5, vcc_lo
	v_cndmask_b32_e32 v7, v10, v11, vcc_lo
	;; [unrolled: 1-line block ×3, first 2 shown]
	v_bfe_u32 v9, v5, 29, 1
	v_alignbit_b32 v10, v5, v7, 30
	v_alignbit_b32 v7, v7, v6, 30
	;; [unrolled: 1-line block ×3, first 2 shown]
	v_sub_nc_u32_e32 v11, 0, v9
	v_xor_b32_e32 v10, v10, v11
	v_xor_b32_e32 v6, v7, v11
	;; [unrolled: 1-line block ×3, first 2 shown]
	v_lshrrev_b32_e32 v11, 29, v5
	v_lshrrev_b32_e32 v5, 30, v5
	v_ffbh_u32_e32 v12, v10
	v_add_nc_u32_e32 v5, v9, v5
	v_min_u32_e32 v12, 32, v12
	v_sub_nc_u32_e32 v7, 31, v12
	v_lshlrev_b32_e32 v13, 23, v12
	v_alignbit_b32 v10, v10, v6, v7
	v_alignbit_b32 v4, v6, v4, v7
	v_lshlrev_b32_e32 v6, 31, v11
	v_alignbit_b32 v7, v10, v4, 9
	v_or_b32_e32 v11, 0.5, v6
	v_lshrrev_b32_e32 v10, 9, v10
	v_or_b32_e32 v6, 0x33000000, v6
	v_ffbh_u32_e32 v14, v7
	v_sub_nc_u32_e32 v11, v11, v13
	v_min_u32_e32 v13, 32, v14
	v_or_b32_e32 v10, v10, v11
	v_not_b32_e32 v11, v13
	v_mul_f32_e32 v14, 0x3fc90fda, v10
	v_add_lshl_u32 v12, v13, v12, 23
	v_alignbit_b32 v4, v7, v4, v11
	v_fma_f32 v7, 0x3fc90fda, v10, -v14
	v_sub_nc_u32_e32 v6, v6, v12
	v_lshrrev_b32_e32 v4, 9, v4
	v_fmamk_f32 v7, v10, 0x33a22168, v7
	v_or_b32_e32 v4, v6, v4
	v_fmac_f32_e32 v7, 0x3fc90fda, v4
	v_add_f32_e32 v4, v14, v7
	s_andn2_saveexec_b32 s0, s44
	s_branch .LBB22_736
.LBB22_734:
	s_mov_b32 s1, 0
	s_mov_b32 s0, s40
	s_branch .LBB22_865
.LBB22_735:
	s_andn2_saveexec_b32 s0, s44
.LBB22_736:
	v_mul_f32_e64 v4, 0x3f22f983, |v1|
	v_rndne_f32_e32 v5, v4
	v_fma_f32 v4, 0xbfc90fda, v5, |v1|
	v_fmamk_f32 v4, v5, 0xb3a22168, v4
	v_fmamk_f32 v4, v5, 0xa7c234c4, v4
	v_cvt_i32_f32_e32 v5, v5
; %bb.737:
	s_or_b32 exec_lo, exec_lo, s0
                                        ; implicit-def: $vgpr7
                                        ; implicit-def: $vgpr6
	s_and_saveexec_b32 s0, s2
	s_xor_b32 s2, exec_lo, s0
	s_cbranch_execz .LBB22_739
; %bb.738:
	s_mov_b32 s0, 0x7fffff
	v_mov_b32_e32 v10, 0
	v_and_or_b32 v17, v2, s0, 0x800000
	v_mad_u64_u32 v[6:7], null, 0xfe5163ab, v17, 0
	v_mov_b32_e32 v9, v7
	v_lshrrev_b32_e32 v7, 23, v2
	v_mad_u64_u32 v[11:12], null, 0x3c439041, v17, v[9:10]
	v_add_nc_u32_e32 v7, 0xffffff88, v7
	v_cmp_lt_u32_e32 vcc_lo, 63, v7
	v_mov_b32_e32 v9, v12
	v_cndmask_b32_e64 v16, 0, 0xffffffc0, vcc_lo
	v_mad_u64_u32 v[12:13], null, 0xdb629599, v17, v[9:10]
	v_add_nc_u32_e32 v7, v16, v7
	v_mov_b32_e32 v9, v13
	v_cmp_lt_u32_e64 s0, 31, v7
	v_cndmask_b32_e32 v6, v12, v6, vcc_lo
	v_mad_u64_u32 v[13:14], null, 0xf534ddc0, v17, v[9:10]
	v_cndmask_b32_e64 v18, 0, 0xffffffe0, s0
	v_add_nc_u32_e32 v7, v18, v7
	v_mov_b32_e32 v9, v14
	v_cndmask_b32_e32 v11, v13, v11, vcc_lo
	v_cmp_lt_u32_e64 s1, 31, v7
	v_mad_u64_u32 v[14:15], null, 0xfc2757d1, v17, v[9:10]
	v_cndmask_b32_e64 v6, v11, v6, s0
	v_mov_b32_e32 v9, v15
	v_mad_u64_u32 v[15:16], null, 0x4e441529, v17, v[9:10]
	v_mov_b32_e32 v9, v16
	v_cndmask_b32_e64 v16, 0, 0xffffffe0, s1
	v_mad_u64_u32 v[9:10], null, 0xa2f9836e, v17, v[9:10]
	v_cndmask_b32_e32 v17, v15, v13, vcc_lo
	v_add_nc_u32_e32 v7, v16, v7
	v_cndmask_b32_e32 v9, v9, v14, vcc_lo
	v_cndmask_b32_e32 v10, v10, v15, vcc_lo
	;; [unrolled: 1-line block ×3, first 2 shown]
	v_sub_nc_u32_e32 v15, 32, v7
	v_cmp_eq_u32_e32 vcc_lo, 0, v7
	v_cndmask_b32_e64 v13, v9, v17, s0
	v_cndmask_b32_e64 v9, v10, v9, s0
	;; [unrolled: 1-line block ×8, first 2 shown]
	v_alignbit_b32 v16, v9, v13, v15
	v_alignbit_b32 v12, v13, v10, v15
	;; [unrolled: 1-line block ×3, first 2 shown]
	v_cndmask_b32_e32 v7, v16, v9, vcc_lo
	v_cndmask_b32_e32 v9, v12, v13, vcc_lo
	;; [unrolled: 1-line block ×3, first 2 shown]
	v_bfe_u32 v11, v7, 29, 1
	v_alignbit_b32 v12, v7, v9, 30
	v_alignbit_b32 v9, v9, v10, 30
	;; [unrolled: 1-line block ×3, first 2 shown]
	v_sub_nc_u32_e32 v13, 0, v11
	v_xor_b32_e32 v12, v12, v13
	v_xor_b32_e32 v9, v9, v13
	;; [unrolled: 1-line block ×3, first 2 shown]
	v_lshrrev_b32_e32 v13, 29, v7
	v_lshrrev_b32_e32 v7, 30, v7
	v_ffbh_u32_e32 v14, v12
	v_add_nc_u32_e32 v7, v11, v7
	v_min_u32_e32 v14, 32, v14
	v_sub_nc_u32_e32 v10, 31, v14
	v_lshlrev_b32_e32 v15, 23, v14
	v_alignbit_b32 v12, v12, v9, v10
	v_alignbit_b32 v6, v9, v6, v10
	v_lshlrev_b32_e32 v9, 31, v13
	v_alignbit_b32 v10, v12, v6, 9
	v_or_b32_e32 v13, 0.5, v9
	v_lshrrev_b32_e32 v12, 9, v12
	v_or_b32_e32 v9, 0x33000000, v9
	v_ffbh_u32_e32 v16, v10
	v_sub_nc_u32_e32 v13, v13, v15
	v_min_u32_e32 v15, 32, v16
	v_or_b32_e32 v12, v12, v13
	v_not_b32_e32 v13, v15
	v_mul_f32_e32 v16, 0x3fc90fda, v12
	v_add_lshl_u32 v14, v15, v14, 23
	v_alignbit_b32 v6, v10, v6, v13
	v_fma_f32 v10, 0x3fc90fda, v12, -v16
	v_sub_nc_u32_e32 v9, v9, v14
	v_lshrrev_b32_e32 v6, 9, v6
	v_fmamk_f32 v10, v12, 0x33a22168, v10
	v_or_b32_e32 v6, v9, v6
	v_fmac_f32_e32 v10, 0x3fc90fda, v6
	v_add_f32_e32 v6, v16, v10
	s_andn2_saveexec_b32 s0, s2
	s_cbranch_execnz .LBB22_740
	s_branch .LBB22_741
.LBB22_739:
	s_andn2_saveexec_b32 s0, s2
.LBB22_740:
	v_mul_f32_e64 v6, 0x3f22f983, |v1|
	v_rndne_f32_e32 v7, v6
	v_fma_f32 v6, 0xbfc90fda, v7, |v1|
	v_fmamk_f32 v6, v7, 0xb3a22168, v6
	v_fmamk_f32 v6, v7, 0xa7c234c4, v6
	v_cvt_i32_f32_e32 v7, v7
.LBB22_741:
	s_or_b32 exec_lo, exec_lo, s0
	v_div_scale_f32 v9, null, v3, v3, 0x40a00000
	v_div_scale_f32 v12, vcc_lo, 0x40a00000, v3, 0x40a00000
	s_mov_b32 s0, 0xb94c1982
	v_rcp_f32_e32 v10, v9
	v_mul_f32_e32 v19, 0x4f800000, v3
	s_mov_b32 s1, 0x37d75334
	v_and_b32_e32 v14, 1, v7
	v_xor_b32_e32 v2, v2, v1
	v_lshlrev_b32_e32 v7, 30, v7
	v_and_b32_e32 v7, 0x80000000, v7
	v_fma_f32 v11, -v9, v10, 1.0
	v_fmac_f32_e32 v10, v11, v10
	v_mul_f32_e32 v11, v12, v10
	v_fma_f32 v13, -v9, v11, v12
	v_fmac_f32_e32 v11, v13, v10
	v_mul_f32_e32 v13, v6, v6
	v_fma_f32 v9, -v9, v11, v12
	v_fmaak_f32 v22, s0, v13, 0x3c0881c4
	v_fmaak_f32 v23, s1, v13, 0xbab64f3b
	v_div_fmas_f32 v9, v9, v10, v11
	v_mul_f32_e32 v10, v4, v4
	v_fmaak_f32 v23, v13, v23, 0x3d2aabf7
	v_and_b32_e32 v11, 1, v5
	v_fmaak_f32 v22, v13, v22, 0xbe2aaa9d
	v_div_fixup_f32 v9, v9, v3, 0x40a00000
	v_fmaak_f32 v20, s0, v10, 0x3c0881c4
	v_cmp_gt_f32_e64 s0, 0xf800000, v3
	v_fmaak_f32 v21, s1, v10, 0xbab64f3b
	v_fmaak_f32 v23, v13, v23, 0xbf000004
	v_mul_f32_e32 v12, v9, v9
	v_fmaak_f32 v20, v10, v20, 0xbe2aaa9d
	v_cndmask_b32_e64 v3, v3, v19, s0
	v_fmaak_f32 v21, v10, v21, 0x3d2aabf7
	v_mul_f32_e32 v22, v13, v22
	v_fmaak_f32 v15, 0, v12, 0x3d513fd3
	v_fmaak_f32 v16, 0, v12, 0x3a15c4d9
	;; [unrolled: 1-line block ×4, first 2 shown]
	v_mul_f32_e32 v20, v10, v20
	v_fmaak_f32 v15, v12, v15, 0x409f6dae
	v_fmaak_f32 v16, v12, v16, 0x3d8cfeeb
	;; [unrolled: 1-line block ×9, first 2 shown]
	v_fmac_f32_e32 v4, v4, v20
	v_fmaak_f32 v15, v12, v15, 0x43b763ca
	v_fmaak_f32 v16, v12, v16, 0x40a25d18
	;; [unrolled: 1-line block ×4, first 2 shown]
	v_sqrt_f32_e32 v26, v3
	v_fmaak_f32 v15, v12, v15, 0x4431b6ce
	v_fmaak_f32 v16, v12, v16, 0x410665cf
	v_fmaak_f32 v17, v12, v17, 0x4106c8e4
	v_fmaak_f32 v18, v12, v18, 0x45f9e855
	v_fma_f32 v10, v10, v21, 1.0
	v_fmaak_f32 v15, v12, v15, 0x44155f56
	v_fmaak_f32 v16, v12, v16, 0x40a6b6ea
	;; [unrolled: 1-line block ×4, first 2 shown]
	v_fma_f32 v13, v13, v23, 1.0
	v_fmaak_f32 v15, v12, v15, 0x4353b052
	v_fma_f32 v16, v12, v16, 1.0
	v_fma_f32 v17, v12, v17, 1.0
	v_fmaak_f32 v18, v12, v18, 0x43a80bfb
	v_cmp_eq_u32_e64 s2, 0, v11
	v_fmaak_f32 v12, v12, v15, 0x41c9a7fa
	v_lshlrev_b32_e32 v5, 30, v5
	v_div_scale_f32 v15, null, v16, v16, v17
	v_div_scale_f32 v29, vcc_lo, v17, v16, v17
	v_div_scale_f32 v24, null, v18, v18, v12
	v_rcp_f32_e32 v19, v15
	v_fmac_f32_e32 v6, v6, v22
	v_cndmask_b32_e64 v4, v10, v4, s2
	v_rcp_f32_e32 v25, v24
	v_cmp_eq_u32_e64 s2, 0, v14
	v_and_b32_e32 v5, 0x80000000, v5
	v_add_nc_u32_e32 v22, -1, v26
	v_cndmask_b32_e64 v6, -v6, v13, s2
	v_fma_f32 v27, -v15, v19, 1.0
	v_fma_f32 v10, -v22, v26, v3
	v_xor3_b32 v2, v2, v5, v4
	v_fma_f32 v28, -v24, v25, 1.0
	v_xor_b32_e32 v6, v7, v6
	v_fmac_f32_e32 v19, v27, v19
	v_div_scale_f32 v27, s1, v12, v18, v12
	v_fmac_f32_e32 v25, v28, v25
	v_add_nc_u32_e32 v28, 1, v26
	v_mul_f32_e32 v20, v29, v19
	v_mul_f32_e32 v21, v27, v25
	v_fma_f32 v11, -v28, v26, v3
	v_fma_f32 v23, -v15, v20, v29
	;; [unrolled: 1-line block ×3, first 2 shown]
	v_fmac_f32_e32 v20, v23, v19
	v_fmac_f32_e32 v21, v30, v25
	v_fma_f32 v13, -v15, v20, v29
	v_fma_f32 v4, -v24, v21, v27
	v_div_fmas_f32 v5, v13, v19, v20
	s_mov_b32 vcc_lo, s1
	v_cmp_ge_f32_e64 s1, 0, v10
	v_div_fmas_f32 v4, v4, v25, v21
	v_cmp_class_f32_e64 vcc_lo, v1, 0x1f8
	v_div_fixup_f32 v5, v5, v16, v17
	v_cndmask_b32_e64 v1, v26, v22, s1
	v_div_fixup_f32 v4, v4, v18, v12
	v_cmp_lt_f32_e64 s1, 0, v11
	v_cndmask_b32_e32 v6, 0x7fc00000, v6, vcc_lo
	v_cndmask_b32_e32 v2, 0x7fc00000, v2, vcc_lo
	v_cmp_class_f32_e64 vcc_lo, v3, 0x260
	v_mul_f32_e32 v4, v9, v4
	v_cndmask_b32_e64 v1, v1, v28, s1
	v_mul_f32_e32 v4, v4, v6
	v_mul_f32_e32 v7, 0x37800000, v1
	v_fmac_f32_e32 v4, v5, v2
	v_cndmask_b32_e64 v1, v1, v7, s0
	v_mul_f32_e32 v2, 0x3f4c422a, v4
	v_cndmask_b32_e32 v1, v1, v3, vcc_lo
	v_div_scale_f32 v3, null, v1, v1, v2
	v_rcp_f32_e32 v4, v3
	v_fma_f32 v5, -v3, v4, 1.0
	v_fmac_f32_e32 v4, v5, v4
	v_div_scale_f32 v5, vcc_lo, v2, v1, v2
	v_mul_f32_e32 v6, v5, v4
	v_fma_f32 v7, -v3, v6, v5
	v_fmac_f32_e32 v6, v7, v4
	v_fma_f32 v3, -v3, v6, v5
	v_div_fmas_f32 v3, v3, v4, v6
	v_div_fixup_f32 v1, v3, v1, v2
.LBB22_742:
	s_or_b32 exec_lo, exec_lo, s43
	v_add_co_u32 v3, s0, s8, v0
	v_add_co_ci_u32_e64 v4, null, s9, 0, s0
	s_and_b32 s1, s29, 0xff
	s_cmp_lt_i32 s1, 11
	s_cbranch_scc1 .LBB22_749
; %bb.743:
	s_and_b32 s2, 0xffff, s1
	s_cmp_gt_i32 s2, 25
	s_cbranch_scc0 .LBB22_750
; %bb.744:
	s_cmp_gt_i32 s2, 28
	s_cbranch_scc0 .LBB22_751
; %bb.745:
	;; [unrolled: 3-line block ×4, first 2 shown]
	s_mov_b32 s44, 0
	s_mov_b32 s0, -1
	s_cmp_eq_u32 s2, 46
	s_mov_b32 s43, 0
	s_cbranch_scc0 .LBB22_754
; %bb.748:
	v_bfe_u32 v0, v1, 16, 1
	v_cmp_o_f32_e32 vcc_lo, v1, v1
	v_mov_b32_e32 v2, 0x7fc0
	s_mov_b32 s43, -1
	s_mov_b32 s0, 0
	v_add3_u32 v0, v1, v0, 0x7fff
	v_cndmask_b32_sdwa v0, v2, v0, vcc_lo dst_sel:DWORD dst_unused:UNUSED_PAD src0_sel:DWORD src1_sel:WORD_1
	global_store_dword v[3:4], v0, off
	s_branch .LBB22_754
.LBB22_749:
	s_mov_b32 s2, -1
	s_mov_b32 s43, 0
	s_mov_b32 s0, s40
	s_branch .LBB22_823
.LBB22_750:
	s_mov_b32 s44, -1
	s_mov_b32 s43, 0
	s_mov_b32 s0, s40
	s_branch .LBB22_781
.LBB22_751:
	s_mov_b32 s44, -1
	s_mov_b32 s43, 0
	s_mov_b32 s0, s40
	s_branch .LBB22_764
.LBB22_752:
	s_mov_b32 s44, -1
	s_mov_b32 s43, 0
	s_mov_b32 s0, s40
	s_branch .LBB22_760
.LBB22_753:
	s_mov_b32 s44, -1
	s_mov_b32 s43, 0
	s_mov_b32 s0, s40
.LBB22_754:
	s_and_b32 vcc_lo, exec_lo, s44
	s_cbranch_vccz .LBB22_759
; %bb.755:
	s_cmp_eq_u32 s2, 44
	s_mov_b32 s0, -1
	s_cbranch_scc0 .LBB22_759
; %bb.756:
	v_bfe_u32 v2, v1, 23, 8
	v_mov_b32_e32 v0, 0xff
	s_mov_b32 s43, exec_lo
	v_cmpx_ne_u32_e32 0xff, v2
	s_cbranch_execz .LBB22_758
; %bb.757:
	v_and_b32_e32 v0, 0x400000, v1
	v_and_or_b32 v2, 0x3fffff, v1, v2
	v_cmp_ne_u32_e32 vcc_lo, 0, v0
	v_cmp_ne_u32_e64 s0, 0, v2
	v_lshrrev_b32_e32 v0, 23, v1
	s_and_b32 s0, vcc_lo, s0
	v_cndmask_b32_e64 v2, 0, 1, s0
	v_add_nc_u32_e32 v0, v0, v2
.LBB22_758:
	s_or_b32 exec_lo, exec_lo, s43
	s_mov_b32 s43, -1
	s_mov_b32 s0, 0
	global_store_byte v[3:4], v0, off
.LBB22_759:
	s_mov_b32 s44, 0
.LBB22_760:
	s_and_b32 vcc_lo, exec_lo, s44
	s_cbranch_vccz .LBB22_763
; %bb.761:
	s_cmp_eq_u32 s2, 29
	s_mov_b32 s0, -1
	s_cbranch_scc0 .LBB22_763
; %bb.762:
	v_trunc_f32_e32 v0, v1
	s_mov_b32 s43, -1
	s_mov_b32 s0, 0
	s_mov_b32 s44, 0
	v_mul_f32_e32 v2, 0x2f800000, v0
	v_floor_f32_e32 v2, v2
	v_fmamk_f32 v0, v2, 0xcf800000, v0
	v_cvt_u32_f32_e32 v6, v2
	v_cvt_u32_f32_e32 v5, v0
	global_store_dwordx2 v[3:4], v[5:6], off
	s_branch .LBB22_764
.LBB22_763:
	s_mov_b32 s44, 0
.LBB22_764:
	s_and_b32 vcc_lo, exec_lo, s44
	s_cbranch_vccz .LBB22_780
; %bb.765:
	s_cmp_lt_i32 s2, 27
	s_mov_b32 s43, -1
	s_cbranch_scc1 .LBB22_771
; %bb.766:
	v_cvt_u32_f32_e32 v0, v1
	s_cmp_gt_i32 s2, 27
	s_cbranch_scc0 .LBB22_768
; %bb.767:
	s_mov_b32 s43, 0
	global_store_dword v[3:4], v0, off
.LBB22_768:
	s_andn2_b32 vcc_lo, exec_lo, s43
	s_cbranch_vccnz .LBB22_770
; %bb.769:
	global_store_short v[3:4], v0, off
.LBB22_770:
	s_mov_b32 s43, 0
.LBB22_771:
	s_andn2_b32 vcc_lo, exec_lo, s43
	s_cbranch_vccnz .LBB22_779
; %bb.772:
	v_and_b32_e32 v0, 0x7fffffff, v1
	v_mov_b32_e32 v2, 0x80
	s_mov_b32 s43, exec_lo
	v_cmpx_gt_u32_e32 0x43800000, v0
	s_cbranch_execz .LBB22_778
; %bb.773:
	v_cmp_lt_u32_e32 vcc_lo, 0x3bffffff, v0
	s_mov_b32 s44, 0
                                        ; implicit-def: $vgpr0
	s_and_saveexec_b32 s45, vcc_lo
	s_xor_b32 s45, exec_lo, s45
	s_cbranch_execz .LBB22_895
; %bb.774:
	v_bfe_u32 v0, v1, 20, 1
	s_mov_b32 s44, exec_lo
	v_add3_u32 v0, v1, v0, 0x487ffff
	v_lshrrev_b32_e32 v0, 20, v0
	s_andn2_saveexec_b32 s45, s45
	s_cbranch_execnz .LBB22_896
.LBB22_775:
	s_or_b32 exec_lo, exec_lo, s45
	v_mov_b32_e32 v2, 0
	s_and_saveexec_b32 s45, s44
.LBB22_776:
	v_lshrrev_b32_e32 v2, 24, v1
	v_and_or_b32 v2, 0x80, v2, v0
.LBB22_777:
	s_or_b32 exec_lo, exec_lo, s45
.LBB22_778:
	s_or_b32 exec_lo, exec_lo, s43
	global_store_byte v[3:4], v2, off
.LBB22_779:
	s_mov_b32 s43, -1
.LBB22_780:
	s_mov_b32 s44, 0
.LBB22_781:
	s_and_b32 vcc_lo, exec_lo, s44
	s_cbranch_vccz .LBB22_822
; %bb.782:
	s_cmp_gt_i32 s2, 22
	s_mov_b32 s44, -1
	s_cbranch_scc0 .LBB22_814
; %bb.783:
	s_cmp_lt_i32 s2, 24
	s_mov_b32 s43, -1
	s_cbranch_scc1 .LBB22_803
; %bb.784:
	s_cmp_gt_i32 s2, 24
	s_cbranch_scc0 .LBB22_792
; %bb.785:
	v_and_b32_e32 v0, 0x7fffffff, v1
	v_mov_b32_e32 v2, 0x80
	s_mov_b32 s43, exec_lo
	v_cmpx_gt_u32_e32 0x47800000, v0
	s_cbranch_execz .LBB22_791
; %bb.786:
	v_cmp_lt_u32_e32 vcc_lo, 0x37ffffff, v0
	s_mov_b32 s44, 0
                                        ; implicit-def: $vgpr0
	s_and_saveexec_b32 s45, vcc_lo
	s_xor_b32 s45, exec_lo, s45
	s_cbranch_execz .LBB22_898
; %bb.787:
	v_bfe_u32 v0, v1, 21, 1
	s_mov_b32 s44, exec_lo
	v_add3_u32 v0, v1, v0, 0x88fffff
	v_lshrrev_b32_e32 v0, 21, v0
	s_andn2_saveexec_b32 s45, s45
	s_cbranch_execnz .LBB22_899
.LBB22_788:
	s_or_b32 exec_lo, exec_lo, s45
	v_mov_b32_e32 v2, 0
	s_and_saveexec_b32 s45, s44
.LBB22_789:
	v_lshrrev_b32_e32 v2, 24, v1
	v_and_or_b32 v2, 0x80, v2, v0
.LBB22_790:
	s_or_b32 exec_lo, exec_lo, s45
.LBB22_791:
	s_or_b32 exec_lo, exec_lo, s43
	s_mov_b32 s43, 0
	global_store_byte v[3:4], v2, off
.LBB22_792:
	s_and_b32 vcc_lo, exec_lo, s43
	s_cbranch_vccz .LBB22_802
; %bb.793:
	v_and_b32_e32 v2, 0x7fffffff, v1
	s_mov_b32 s43, exec_lo
                                        ; implicit-def: $vgpr0
	v_cmpx_gt_u32_e32 0x43f00000, v2
	s_xor_b32 s43, exec_lo, s43
	s_cbranch_execz .LBB22_799
; %bb.794:
	s_mov_b32 s44, exec_lo
                                        ; implicit-def: $vgpr0
	v_cmpx_lt_u32_e32 0x3c7fffff, v2
	s_xor_b32 s44, exec_lo, s44
; %bb.795:
	v_bfe_u32 v0, v1, 20, 1
	v_add3_u32 v0, v1, v0, 0x407ffff
	v_and_b32_e32 v2, 0xff00000, v0
	v_lshrrev_b32_e32 v0, 20, v0
	v_cmp_ne_u32_e32 vcc_lo, 0x7f00000, v2
	v_cndmask_b32_e32 v0, 0x7e, v0, vcc_lo
; %bb.796:
	s_andn2_saveexec_b32 s44, s44
; %bb.797:
	v_add_f32_e64 v0, 0x46800000, |v1|
; %bb.798:
	s_or_b32 exec_lo, exec_lo, s44
                                        ; implicit-def: $vgpr2
.LBB22_799:
	s_andn2_saveexec_b32 s43, s43
; %bb.800:
	v_mov_b32_e32 v0, 0x7f
	v_cmp_lt_u32_e32 vcc_lo, 0x7f800000, v2
	v_cndmask_b32_e32 v0, 0x7e, v0, vcc_lo
; %bb.801:
	s_or_b32 exec_lo, exec_lo, s43
	v_lshrrev_b32_e32 v2, 24, v1
	v_and_or_b32 v0, 0x80, v2, v0
	global_store_byte v[3:4], v0, off
.LBB22_802:
	s_mov_b32 s43, 0
.LBB22_803:
	s_andn2_b32 vcc_lo, exec_lo, s43
	s_cbranch_vccnz .LBB22_813
; %bb.804:
	v_and_b32_e32 v2, 0x7fffffff, v1
	s_mov_b32 s43, exec_lo
                                        ; implicit-def: $vgpr0
	v_cmpx_gt_u32_e32 0x47800000, v2
	s_xor_b32 s43, exec_lo, s43
	s_cbranch_execz .LBB22_810
; %bb.805:
	s_mov_b32 s44, exec_lo
                                        ; implicit-def: $vgpr0
	v_cmpx_lt_u32_e32 0x387fffff, v2
	s_xor_b32 s44, exec_lo, s44
; %bb.806:
	v_bfe_u32 v0, v1, 21, 1
	v_add3_u32 v0, v1, v0, 0x80fffff
	v_lshrrev_b32_e32 v0, 21, v0
; %bb.807:
	s_andn2_saveexec_b32 s44, s44
; %bb.808:
	v_add_f32_e64 v0, 0x43000000, |v1|
; %bb.809:
	s_or_b32 exec_lo, exec_lo, s44
                                        ; implicit-def: $vgpr2
.LBB22_810:
	s_andn2_saveexec_b32 s43, s43
; %bb.811:
	v_mov_b32_e32 v0, 0x7f
	v_cmp_lt_u32_e32 vcc_lo, 0x7f800000, v2
	v_cndmask_b32_e32 v0, 0x7c, v0, vcc_lo
; %bb.812:
	s_or_b32 exec_lo, exec_lo, s43
	v_lshrrev_b32_e32 v2, 24, v1
	v_and_or_b32 v0, 0x80, v2, v0
	global_store_byte v[3:4], v0, off
.LBB22_813:
	s_mov_b32 s44, 0
	s_mov_b32 s43, -1
.LBB22_814:
	s_andn2_b32 vcc_lo, exec_lo, s44
	s_cbranch_vccnz .LBB22_822
; %bb.815:
	s_cmp_gt_i32 s2, 14
	s_mov_b32 s44, -1
	s_cbranch_scc0 .LBB22_819
; %bb.816:
	s_cmp_eq_u32 s2, 15
	s_mov_b32 s0, -1
	s_cbranch_scc0 .LBB22_818
; %bb.817:
	v_bfe_u32 v0, v1, 16, 1
	v_cmp_o_f32_e32 vcc_lo, v1, v1
	v_mov_b32_e32 v2, 0x7fc0
	s_mov_b32 s43, -1
	s_mov_b32 s0, 0
	v_add3_u32 v0, v1, v0, 0x7fff
	v_cndmask_b32_sdwa v0, v2, v0, vcc_lo dst_sel:DWORD dst_unused:UNUSED_PAD src0_sel:DWORD src1_sel:WORD_1
	global_store_short v[3:4], v0, off
.LBB22_818:
	s_mov_b32 s44, 0
.LBB22_819:
	s_and_b32 vcc_lo, exec_lo, s44
	s_cbranch_vccz .LBB22_822
; %bb.820:
	s_cmp_eq_u32 s2, 11
	s_mov_b32 s0, -1
	s_cbranch_scc0 .LBB22_822
; %bb.821:
	v_cmp_neq_f32_e32 vcc_lo, 0, v1
	s_mov_b32 s0, 0
	s_mov_b32 s43, -1
	v_cndmask_b32_e64 v0, 0, 1, vcc_lo
	global_store_byte v[3:4], v0, off
.LBB22_822:
	s_mov_b32 s2, 0
.LBB22_823:
	s_and_b32 vcc_lo, exec_lo, s2
	s_cbranch_vccz .LBB22_862
; %bb.824:
	s_and_b32 s1, 0xffff, s1
	s_mov_b32 s2, -1
	s_cmp_lt_i32 s1, 5
	s_cbranch_scc1 .LBB22_845
; %bb.825:
	s_cmp_lt_i32 s1, 8
	s_cbranch_scc1 .LBB22_835
; %bb.826:
	s_cmp_lt_i32 s1, 9
	s_cbranch_scc1 .LBB22_832
; %bb.827:
	s_cmp_gt_i32 s1, 9
	s_cbranch_scc0 .LBB22_829
; %bb.828:
	v_cvt_f64_f32_e32 v[9:10], v1
	v_mov_b32_e32 v11, 0
	s_mov_b32 s2, 0
	v_mov_b32_e32 v12, v11
	global_store_dwordx4 v[3:4], v[9:12], off
.LBB22_829:
	s_andn2_b32 vcc_lo, exec_lo, s2
	s_cbranch_vccnz .LBB22_831
; %bb.830:
	v_mov_b32_e32 v2, 0
	global_store_dwordx2 v[3:4], v[1:2], off
.LBB22_831:
	s_mov_b32 s2, 0
.LBB22_832:
	s_andn2_b32 vcc_lo, exec_lo, s2
	s_cbranch_vccnz .LBB22_834
; %bb.833:
	v_cvt_f16_f32_e32 v0, v1
	v_and_b32_e32 v0, 0xffff, v0
	global_store_dword v[3:4], v0, off
.LBB22_834:
	s_mov_b32 s2, 0
.LBB22_835:
	s_andn2_b32 vcc_lo, exec_lo, s2
	s_cbranch_vccnz .LBB22_844
; %bb.836:
	s_cmp_lt_i32 s1, 6
	s_mov_b32 s2, -1
	s_cbranch_scc1 .LBB22_842
; %bb.837:
	s_cmp_gt_i32 s1, 6
	s_cbranch_scc0 .LBB22_839
; %bb.838:
	v_cvt_f64_f32_e32 v[5:6], v1
	s_mov_b32 s2, 0
	global_store_dwordx2 v[3:4], v[5:6], off
.LBB22_839:
	s_andn2_b32 vcc_lo, exec_lo, s2
	s_cbranch_vccnz .LBB22_841
; %bb.840:
	global_store_dword v[3:4], v1, off
.LBB22_841:
	s_mov_b32 s2, 0
.LBB22_842:
	s_andn2_b32 vcc_lo, exec_lo, s2
	s_cbranch_vccnz .LBB22_844
; %bb.843:
	v_cvt_f16_f32_e32 v0, v1
	global_store_short v[3:4], v0, off
.LBB22_844:
	s_mov_b32 s2, 0
.LBB22_845:
	s_andn2_b32 vcc_lo, exec_lo, s2
	s_cbranch_vccnz .LBB22_861
; %bb.846:
	s_cmp_lt_i32 s1, 2
	s_mov_b32 s2, -1
	s_cbranch_scc1 .LBB22_856
; %bb.847:
	s_cmp_lt_i32 s1, 3
	s_cbranch_scc1 .LBB22_853
; %bb.848:
	s_cmp_gt_i32 s1, 3
	s_cbranch_scc0 .LBB22_850
; %bb.849:
	v_trunc_f32_e32 v0, v1
	s_mov_b32 s2, 0
	v_mul_f32_e64 v2, 0x2f800000, |v0|
	v_floor_f32_e32 v2, v2
	v_fma_f32 v5, 0xcf800000, v2, |v0|
	v_ashrrev_i32_e32 v0, 31, v0
	v_cvt_u32_f32_e32 v2, v2
	v_cvt_u32_f32_e32 v5, v5
	v_xor_b32_e32 v2, v2, v0
	v_xor_b32_e32 v5, v5, v0
	v_sub_co_u32 v5, vcc_lo, v5, v0
	v_sub_co_ci_u32_e64 v6, null, v2, v0, vcc_lo
	global_store_dwordx2 v[3:4], v[5:6], off
.LBB22_850:
	s_andn2_b32 vcc_lo, exec_lo, s2
	s_cbranch_vccnz .LBB22_852
; %bb.851:
	v_cvt_i32_f32_e32 v0, v1
	global_store_dword v[3:4], v0, off
.LBB22_852:
	s_mov_b32 s2, 0
.LBB22_853:
	s_andn2_b32 vcc_lo, exec_lo, s2
	s_cbranch_vccnz .LBB22_855
; %bb.854:
	v_cvt_i32_f32_e32 v0, v1
	global_store_short v[3:4], v0, off
.LBB22_855:
	s_mov_b32 s2, 0
.LBB22_856:
	s_andn2_b32 vcc_lo, exec_lo, s2
	s_cbranch_vccnz .LBB22_861
; %bb.857:
	s_cmp_gt_i32 s1, 0
	s_mov_b32 s1, -1
	s_cbranch_scc0 .LBB22_859
; %bb.858:
	v_cvt_i32_f32_e32 v0, v1
	s_mov_b32 s1, 0
	global_store_byte v[3:4], v0, off
.LBB22_859:
	s_andn2_b32 vcc_lo, exec_lo, s1
	s_cbranch_vccnz .LBB22_861
; %bb.860:
	v_trunc_f32_e32 v0, v1
	v_mul_f32_e64 v1, 0x2f800000, |v0|
	v_floor_f32_e32 v1, v1
	v_fma_f32 v1, 0xcf800000, v1, |v0|
	v_ashrrev_i32_e32 v0, 31, v0
	v_cvt_u32_f32_e32 v1, v1
	v_xor_b32_e32 v1, v1, v0
	v_sub_nc_u32_e32 v0, v1, v0
	global_store_byte v[3:4], v0, off
.LBB22_861:
	s_mov_b32 s43, -1
.LBB22_862:
	s_andn2_b32 vcc_lo, exec_lo, s43
	s_cbranch_vccnz .LBB22_864
; %bb.863:
	v_add_nc_u32_e32 v8, 0x80, v8
	s_mov_b32 s1, -1
	s_branch .LBB22_866
.LBB22_864:
	s_mov_b32 s1, 0
.LBB22_865:
                                        ; implicit-def: $vgpr8
.LBB22_866:
	s_andn2_b32 s2, s40, exec_lo
	s_and_b32 s0, s0, exec_lo
	s_andn2_b32 s43, s39, exec_lo
	s_and_b32 s3, s3, exec_lo
	s_or_b32 s44, s2, s0
	s_or_b32 s43, s43, s3
	s_orn2_b32 s3, s1, exec_lo
.LBB22_867:
	s_or_b32 exec_lo, exec_lo, s42
	s_mov_b32 s0, 0
	s_mov_b32 s1, 0
	;; [unrolled: 1-line block ×3, first 2 shown]
                                        ; implicit-def: $vgpr1_vgpr2
                                        ; implicit-def: $vgpr0
                                        ; implicit-def: $vgpr5
	s_and_saveexec_b32 s42, s3
	s_cbranch_execz .LBB22_967
; %bb.868:
	v_cmp_gt_i32_e32 vcc_lo, s33, v8
	s_mov_b32 s45, s43
	s_mov_b32 s3, 0
	;; [unrolled: 1-line block ×3, first 2 shown]
                                        ; implicit-def: $vgpr1_vgpr2
                                        ; implicit-def: $vgpr0
                                        ; implicit-def: $vgpr5
	s_and_saveexec_b32 s33, vcc_lo
	s_cbranch_execz .LBB22_966
; %bb.869:
	s_andn2_b32 vcc_lo, exec_lo, s27
	s_cbranch_vccnz .LBB22_874
; %bb.870:
	s_andn2_b32 vcc_lo, exec_lo, s34
	s_cbranch_vccnz .LBB22_875
; %bb.871:
	s_add_i32 s35, s35, 1
	s_cmp_eq_u32 s25, 2
	s_cbranch_scc1 .LBB22_876
; %bb.872:
	v_mov_b32_e32 v2, 0
	v_mov_b32_e32 v0, 0
	v_mov_b32_e32 v1, v8
	s_and_b32 s2, s35, 28
	s_mov_b64 s[0:1], s[6:7]
.LBB22_873:                             ; =>This Inner Loop Header: Depth=1
	s_clause 0x1
	s_load_dwordx8 s[48:55], s[0:1], 0x4
	s_load_dwordx4 s[64:67], s[0:1], 0x24
	s_load_dwordx8 s[56:63], s[22:23], 0x0
	s_add_u32 s0, s0, 48
	s_addc_u32 s1, s1, 0
	s_add_i32 s3, s3, 4
	s_add_u32 s22, s22, 32
	s_addc_u32 s23, s23, 0
	s_cmp_eq_u32 s2, s3
	s_waitcnt vmcnt(0) lgkmcnt(0)
	v_mul_hi_u32 v3, s49, v1
	v_add_nc_u32_e32 v3, v1, v3
	v_lshrrev_b32_e32 v3, s50, v3
	v_mul_hi_u32 v4, s52, v3
	v_mul_lo_u32 v6, v3, s48
	v_add_nc_u32_e32 v4, v3, v4
	v_sub_nc_u32_e32 v1, v1, v6
	v_lshrrev_b32_e32 v4, s53, v4
	v_mul_lo_u32 v6, v1, s56
	v_mul_lo_u32 v9, v1, s57
	v_mul_hi_u32 v5, s55, v4
	v_add_nc_u32_e32 v5, v4, v5
	v_lshrrev_b32_e32 v5, s64, v5
	v_mul_hi_u32 v7, s66, v5
	v_mul_lo_u32 v10, v5, s54
	v_add_nc_u32_e32 v1, v5, v7
	v_mul_lo_u32 v7, v4, s51
	v_sub_nc_u32_e32 v4, v4, v10
	v_lshrrev_b32_e32 v1, s67, v1
	v_mul_lo_u32 v10, v4, s60
	v_mul_lo_u32 v4, v4, s61
	v_sub_nc_u32_e32 v3, v3, v7
	v_mul_lo_u32 v11, v1, s65
	v_mul_lo_u32 v7, v3, s58
	;; [unrolled: 1-line block ×3, first 2 shown]
	v_sub_nc_u32_e32 v5, v5, v11
	v_add3_u32 v0, v6, v0, v7
	v_mul_lo_u32 v11, v5, s62
	v_mul_lo_u32 v5, v5, s63
	v_add3_u32 v2, v9, v2, v3
	v_add3_u32 v0, v10, v0, v11
	;; [unrolled: 1-line block ×3, first 2 shown]
	s_cbranch_scc0 .LBB22_873
	s_branch .LBB22_877
.LBB22_874:
	s_mov_b32 s0, -1
                                        ; implicit-def: $vgpr0
                                        ; implicit-def: $vgpr2
	s_branch .LBB22_881
.LBB22_875:
	v_mov_b32_e32 v0, 0
	v_mov_b32_e32 v2, 0
	s_branch .LBB22_880
.LBB22_876:
	v_mov_b32_e32 v0, 0
	v_mov_b32_e32 v2, 0
	;; [unrolled: 1-line block ×3, first 2 shown]
.LBB22_877:
	s_and_b32 s22, s35, 3
	s_cmp_eq_u32 s22, 0
	s_cbranch_scc1 .LBB22_880
; %bb.878:
	s_lshl_b32 s0, s2, 3
	s_mul_i32 s2, s2, 12
	s_add_u32 s0, s6, s0
	s_addc_u32 s1, s7, 0
	s_add_u32 s0, s0, 0xc4
	s_addc_u32 s1, s1, 0
	;; [unrolled: 2-line block ×3, first 2 shown]
.LBB22_879:                             ; =>This Inner Loop Header: Depth=1
	s_clause 0x1
	s_load_dwordx2 s[34:35], s[2:3], 0x4
	s_load_dword s23, s[2:3], 0xc
	s_load_dwordx2 s[46:47], s[0:1], 0x0
	s_add_u32 s2, s2, 12
	s_addc_u32 s3, s3, 0
	s_add_u32 s0, s0, 8
	s_addc_u32 s1, s1, 0
	s_add_i32 s22, s22, -1
	s_cmp_lg_u32 s22, 0
	s_waitcnt vmcnt(0) lgkmcnt(0)
	v_mul_hi_u32 v3, s35, v1
	v_add_nc_u32_e32 v3, v1, v3
	v_lshrrev_b32_e32 v4, s23, v3
	v_mul_lo_u32 v3, v4, s34
	v_sub_nc_u32_e32 v3, v1, v3
	v_mad_u64_u32 v[0:1], null, v3, s46, v[0:1]
	v_mad_u64_u32 v[2:3], null, v3, s47, v[2:3]
	v_mov_b32_e32 v1, v4
	s_cbranch_scc1 .LBB22_879
.LBB22_880:
	s_mov_b32 s0, 0
.LBB22_881:
	s_andn2_b32 vcc_lo, exec_lo, s0
	s_cbranch_vccnz .LBB22_884
; %bb.882:
	s_waitcnt lgkmcnt(0)
	v_mul_hi_u32 v0, s17, v8
	s_andn2_b32 vcc_lo, exec_lo, s31
	v_add_nc_u32_e32 v0, v8, v0
	v_lshrrev_b32_e32 v1, s18, v0
	v_mul_lo_u32 v0, v1, s16
	v_sub_nc_u32_e32 v2, v8, v0
	v_mul_lo_u32 v0, v2, s12
	v_mul_lo_u32 v2, v2, s13
	s_cbranch_vccnz .LBB22_884
; %bb.883:
	s_waitcnt vmcnt(0)
	v_mul_hi_u32 v3, s20, v1
	v_add_nc_u32_e32 v3, v1, v3
	v_lshrrev_b32_e32 v3, s21, v3
	v_mul_lo_u32 v3, v3, s19
	v_sub_nc_u32_e32 v3, v1, v3
	v_mad_u64_u32 v[0:1], null, v3, s14, v[0:1]
	v_mad_u64_u32 v[2:3], null, v3, s15, v[2:3]
.LBB22_884:
	s_waitcnt lgkmcnt(0)
	v_add_co_u32 v1, s0, s10, v2
	v_add_co_ci_u32_e64 v2, null, s11, 0, s0
	s_and_b32 s0, 0xffff, s30
	s_cmp_lt_i32 s0, 11
	s_cbranch_scc1 .LBB22_891
; %bb.885:
	s_cmp_gt_i32 s0, 25
	s_mov_b32 s2, 0
	s_cbranch_scc0 .LBB22_892
; %bb.886:
	s_cmp_gt_i32 s0, 28
	s_cbranch_scc0 .LBB22_893
; %bb.887:
	s_cmp_gt_i32 s0, 43
	;; [unrolled: 3-line block ×3, first 2 shown]
	s_cbranch_scc0 .LBB22_897
; %bb.889:
	s_cmp_eq_u32 s0, 46
	s_mov_b32 s10, 0
	s_cbranch_scc0 .LBB22_900
; %bb.890:
	global_load_dword v3, v[1:2], off
	s_mov_b32 s1, 0
	s_mov_b32 s3, -1
	s_waitcnt vmcnt(0)
	v_lshlrev_b32_e32 v5, 16, v3
	s_branch .LBB22_902
.LBB22_891:
	s_mov_b32 s0, -1
	s_mov_b32 s3, 0
	s_mov_b32 s2, 0
	;; [unrolled: 1-line block ×3, first 2 shown]
                                        ; implicit-def: $vgpr5
	s_branch .LBB22_965
.LBB22_892:
	s_mov_b32 s10, -1
	s_mov_b32 s3, 0
	s_mov_b32 s1, s43
                                        ; implicit-def: $vgpr5
	s_branch .LBB22_931
.LBB22_893:
	s_mov_b32 s10, -1
	s_mov_b32 s3, 0
	s_mov_b32 s1, s43
                                        ; implicit-def: $vgpr5
	s_branch .LBB22_912
.LBB22_894:
	s_mov_b32 s10, -1
	s_mov_b32 s3, 0
	s_mov_b32 s1, s43
                                        ; implicit-def: $vgpr5
	s_branch .LBB22_907
.LBB22_895:
	s_andn2_saveexec_b32 s45, s45
	s_cbranch_execz .LBB22_775
.LBB22_896:
	v_add_f32_e64 v0, 0x46000000, |v1|
	s_andn2_b32 s44, s44, exec_lo
	v_and_b32_e32 v0, 0xff, v0
	v_cmp_ne_u32_e32 vcc_lo, 0, v0
	s_and_b32 s46, vcc_lo, exec_lo
	s_or_b32 s44, s44, s46
	s_or_b32 exec_lo, exec_lo, s45
	v_mov_b32_e32 v2, 0
	s_and_saveexec_b32 s45, s44
	s_cbranch_execnz .LBB22_776
	s_branch .LBB22_777
.LBB22_897:
	s_mov_b32 s10, -1
	s_mov_b32 s3, 0
	s_mov_b32 s1, s43
	s_branch .LBB22_901
.LBB22_898:
	s_andn2_saveexec_b32 s45, s45
	s_cbranch_execz .LBB22_788
.LBB22_899:
	v_add_f32_e64 v0, 0x42800000, |v1|
	s_andn2_b32 s44, s44, exec_lo
	v_and_b32_e32 v0, 0xff, v0
	v_cmp_ne_u32_e32 vcc_lo, 0, v0
	s_and_b32 s46, vcc_lo, exec_lo
	s_or_b32 s44, s44, s46
	s_or_b32 exec_lo, exec_lo, s45
	v_mov_b32_e32 v2, 0
	s_and_saveexec_b32 s45, s44
	s_cbranch_execnz .LBB22_789
	s_branch .LBB22_790
.LBB22_900:
	s_mov_b32 s1, -1
	s_mov_b32 s3, 0
.LBB22_901:
                                        ; implicit-def: $vgpr5
.LBB22_902:
	s_and_b32 vcc_lo, exec_lo, s10
	s_cbranch_vccz .LBB22_906
; %bb.903:
	s_cmp_eq_u32 s0, 44
	s_cbranch_scc0 .LBB22_905
; %bb.904:
	global_load_ubyte v3, v[1:2], off
	s_mov_b32 s1, 0
	s_mov_b32 s3, -1
	s_waitcnt vmcnt(0)
	v_lshlrev_b32_e32 v4, 23, v3
	v_cmp_ne_u32_e32 vcc_lo, 0xff, v3
	v_cndmask_b32_e32 v4, 0x7f800001, v4, vcc_lo
	v_cmp_ne_u32_e32 vcc_lo, 0, v3
	v_cndmask_b32_e32 v5, 0x400000, v4, vcc_lo
	s_branch .LBB22_906
.LBB22_905:
	s_mov_b32 s1, -1
                                        ; implicit-def: $vgpr5
.LBB22_906:
	s_mov_b32 s10, 0
.LBB22_907:
	s_and_b32 vcc_lo, exec_lo, s10
	s_cbranch_vccz .LBB22_911
; %bb.908:
	s_cmp_eq_u32 s0, 29
	s_cbranch_scc0 .LBB22_910
; %bb.909:
	global_load_dwordx2 v[3:4], v[1:2], off
	s_mov_b32 s1, 0
	s_mov_b32 s3, -1
	s_mov_b32 s10, 0
	s_waitcnt vmcnt(0)
	v_ffbh_u32_e32 v5, v4
	v_min_u32_e32 v5, 32, v5
	v_lshlrev_b64 v[3:4], v5, v[3:4]
	v_min_u32_e32 v3, 1, v3
	v_or_b32_e32 v3, v4, v3
	v_sub_nc_u32_e32 v4, 32, v5
	v_cvt_f32_u32_e32 v3, v3
	v_ldexp_f32 v5, v3, v4
	s_branch .LBB22_912
.LBB22_910:
	s_mov_b32 s1, -1
                                        ; implicit-def: $vgpr5
.LBB22_911:
	s_mov_b32 s10, 0
.LBB22_912:
	s_and_b32 vcc_lo, exec_lo, s10
	s_cbranch_vccz .LBB22_930
; %bb.913:
	s_cmp_lt_i32 s0, 27
	s_cbranch_scc1 .LBB22_916
; %bb.914:
	s_cmp_gt_i32 s0, 27
	s_cbranch_scc0 .LBB22_917
; %bb.915:
	global_load_dword v3, v[1:2], off
	s_mov_b32 s3, 0
	s_waitcnt vmcnt(0)
	v_cvt_f32_u32_e32 v5, v3
	s_branch .LBB22_918
.LBB22_916:
	s_mov_b32 s3, -1
                                        ; implicit-def: $vgpr5
	s_branch .LBB22_921
.LBB22_917:
	s_mov_b32 s3, -1
                                        ; implicit-def: $vgpr5
.LBB22_918:
	s_andn2_b32 vcc_lo, exec_lo, s3
	s_cbranch_vccnz .LBB22_920
; %bb.919:
	global_load_ushort v3, v[1:2], off
	s_waitcnt vmcnt(0)
	v_cvt_f32_u32_e32 v5, v3
.LBB22_920:
	s_mov_b32 s3, 0
.LBB22_921:
	s_andn2_b32 vcc_lo, exec_lo, s3
	s_cbranch_vccnz .LBB22_929
; %bb.922:
	global_load_ubyte v3, v[1:2], off
	s_mov_b32 s3, 0
	s_mov_b32 s10, exec_lo
	s_waitcnt vmcnt(0)
	v_cmpx_lt_i16_e32 0x7f, v3
	s_xor_b32 s10, exec_lo, s10
	s_cbranch_execz .LBB22_943
; %bb.923:
	s_mov_b32 s3, -1
	s_mov_b32 s11, exec_lo
	v_cmpx_eq_u16_e32 0x80, v3
; %bb.924:
	s_xor_b32 s3, exec_lo, -1
; %bb.925:
	s_or_b32 exec_lo, exec_lo, s11
	s_and_b32 s3, s3, exec_lo
	s_or_saveexec_b32 s10, s10
	v_mov_b32_e32 v5, 0x7f800001
	s_xor_b32 exec_lo, exec_lo, s10
	s_cbranch_execnz .LBB22_944
.LBB22_926:
	s_or_b32 exec_lo, exec_lo, s10
	s_and_saveexec_b32 s10, s3
	s_cbranch_execz .LBB22_928
.LBB22_927:
	v_and_b32_e32 v4, 0xffff, v3
	v_lshlrev_b32_e32 v3, 24, v3
	v_and_b32_e32 v5, 7, v4
	v_bfe_u32 v8, v4, 3, 4
	v_and_b32_e32 v3, 0x80000000, v3
	v_ffbh_u32_e32 v6, v5
	v_cmp_eq_u32_e32 vcc_lo, 0, v8
	v_min_u32_e32 v6, 32, v6
	v_subrev_nc_u32_e32 v7, 28, v6
	v_sub_nc_u32_e32 v6, 29, v6
	v_lshlrev_b32_e32 v4, v7, v4
	v_cndmask_b32_e32 v6, v8, v6, vcc_lo
	v_and_b32_e32 v4, 7, v4
	v_cndmask_b32_e32 v4, v5, v4, vcc_lo
	v_lshl_add_u32 v5, v6, 23, 0x3b800000
	v_lshlrev_b32_e32 v4, 20, v4
	v_or3_b32 v5, v3, v5, v4
.LBB22_928:
	s_or_b32 exec_lo, exec_lo, s10
.LBB22_929:
	s_mov_b32 s3, -1
.LBB22_930:
	s_mov_b32 s10, 0
.LBB22_931:
	s_and_b32 vcc_lo, exec_lo, s10
	s_cbranch_vccz .LBB22_964
; %bb.932:
	s_cmp_gt_i32 s0, 22
	s_cbranch_scc0 .LBB22_942
; %bb.933:
	s_cmp_lt_i32 s0, 24
	s_cbranch_scc1 .LBB22_945
; %bb.934:
	s_cmp_gt_i32 s0, 24
	s_cbranch_scc0 .LBB22_946
; %bb.935:
	global_load_ubyte v3, v[1:2], off
	s_mov_b32 s3, exec_lo
	s_waitcnt vmcnt(0)
	v_cmpx_lt_i16_e32 0x7f, v3
	s_xor_b32 s3, exec_lo, s3
	s_cbranch_execz .LBB22_958
; %bb.936:
	s_mov_b32 s2, -1
	s_mov_b32 s10, exec_lo
	v_cmpx_eq_u16_e32 0x80, v3
; %bb.937:
	s_xor_b32 s2, exec_lo, -1
; %bb.938:
	s_or_b32 exec_lo, exec_lo, s10
	s_and_b32 s2, s2, exec_lo
	s_or_saveexec_b32 s3, s3
	v_mov_b32_e32 v5, 0x7f800001
	s_xor_b32 exec_lo, exec_lo, s3
	s_cbranch_execnz .LBB22_959
.LBB22_939:
	s_or_b32 exec_lo, exec_lo, s3
	s_and_saveexec_b32 s3, s2
	s_cbranch_execz .LBB22_941
.LBB22_940:
	v_and_b32_e32 v4, 0xffff, v3
	v_lshlrev_b32_e32 v3, 24, v3
	v_and_b32_e32 v5, 3, v4
	v_bfe_u32 v8, v4, 2, 5
	v_and_b32_e32 v3, 0x80000000, v3
	v_ffbh_u32_e32 v6, v5
	v_cmp_eq_u32_e32 vcc_lo, 0, v8
	v_min_u32_e32 v6, 32, v6
	v_subrev_nc_u32_e32 v7, 29, v6
	v_sub_nc_u32_e32 v6, 30, v6
	v_lshlrev_b32_e32 v4, v7, v4
	v_cndmask_b32_e32 v6, v8, v6, vcc_lo
	v_and_b32_e32 v4, 3, v4
	v_cndmask_b32_e32 v4, v5, v4, vcc_lo
	v_lshl_add_u32 v5, v6, 23, 0x37800000
	v_lshlrev_b32_e32 v4, 21, v4
	v_or3_b32 v5, v3, v5, v4
.LBB22_941:
	s_or_b32 exec_lo, exec_lo, s3
	s_mov_b32 s2, 0
	s_branch .LBB22_947
.LBB22_942:
	s_mov_b32 s2, -1
                                        ; implicit-def: $vgpr5
	s_branch .LBB22_953
.LBB22_943:
	s_or_saveexec_b32 s10, s10
	v_mov_b32_e32 v5, 0x7f800001
	s_xor_b32 exec_lo, exec_lo, s10
	s_cbranch_execz .LBB22_926
.LBB22_944:
	v_cmp_ne_u16_e32 vcc_lo, 0, v3
	v_mov_b32_e32 v5, 0
	s_andn2_b32 s3, s3, exec_lo
	s_and_b32 s11, vcc_lo, exec_lo
	s_or_b32 s3, s3, s11
	s_or_b32 exec_lo, exec_lo, s10
	s_and_saveexec_b32 s10, s3
	s_cbranch_execnz .LBB22_927
	s_branch .LBB22_928
.LBB22_945:
	s_mov_b32 s2, -1
                                        ; implicit-def: $vgpr5
	s_branch .LBB22_950
.LBB22_946:
	s_mov_b32 s2, -1
                                        ; implicit-def: $vgpr5
.LBB22_947:
	s_and_b32 vcc_lo, exec_lo, s2
	s_cbranch_vccz .LBB22_949
; %bb.948:
	global_load_ubyte v3, v[1:2], off
	s_waitcnt vmcnt(0)
	v_lshlrev_b32_e32 v3, 24, v3
	v_and_b32_e32 v4, 0x7f000000, v3
	v_ffbh_u32_e32 v5, v4
	v_add_nc_u32_e32 v7, 0x1000000, v4
	v_cmp_ne_u32_e32 vcc_lo, 0, v4
	v_min_u32_e32 v5, 32, v5
	v_sub_nc_u32_e64 v5, v5, 4 clamp
	v_lshlrev_b32_e32 v6, v5, v4
	v_lshlrev_b32_e32 v5, 23, v5
	v_lshrrev_b32_e32 v6, 4, v6
	v_sub_nc_u32_e32 v5, v6, v5
	v_ashrrev_i32_e32 v6, 8, v7
	v_add_nc_u32_e32 v5, 0x3c000000, v5
	v_and_or_b32 v5, 0x7f800000, v6, v5
	v_cndmask_b32_e32 v4, 0, v5, vcc_lo
	v_and_or_b32 v5, 0x80000000, v3, v4
.LBB22_949:
	s_mov_b32 s2, 0
.LBB22_950:
	s_andn2_b32 vcc_lo, exec_lo, s2
	s_cbranch_vccnz .LBB22_952
; %bb.951:
	global_load_ubyte v3, v[1:2], off
	s_waitcnt vmcnt(0)
	v_lshlrev_b32_e32 v4, 25, v3
	v_lshlrev_b16 v3, 8, v3
	v_lshrrev_b32_e32 v5, 4, v4
	v_and_or_b32 v6, 0x7f00, v3, 0.5
	v_cmp_gt_u32_e32 vcc_lo, 0x8000000, v4
	v_bfe_i32 v3, v3, 0, 16
	v_or_b32_e32 v5, 0x70000000, v5
	v_add_f32_e32 v6, -0.5, v6
	v_mul_f32_e32 v5, 0x7800000, v5
	v_cndmask_b32_e32 v4, v5, v6, vcc_lo
	v_and_or_b32 v5, 0x80000000, v3, v4
.LBB22_952:
	s_mov_b32 s2, 0
	s_mov_b32 s3, -1
.LBB22_953:
	s_andn2_b32 vcc_lo, exec_lo, s2
	s_mov_b32 s2, 0
	s_cbranch_vccnz .LBB22_964
; %bb.954:
	s_cmp_gt_i32 s0, 14
	s_cbranch_scc0 .LBB22_957
; %bb.955:
	s_cmp_eq_u32 s0, 15
	s_cbranch_scc0 .LBB22_960
; %bb.956:
	global_load_ushort v3, v[1:2], off
	s_mov_b32 s1, 0
	s_mov_b32 s3, -1
	s_waitcnt vmcnt(0)
	v_lshlrev_b32_e32 v5, 16, v3
	s_branch .LBB22_962
.LBB22_957:
	s_mov_b32 s2, -1
	s_branch .LBB22_961
.LBB22_958:
	s_or_saveexec_b32 s3, s3
	v_mov_b32_e32 v5, 0x7f800001
	s_xor_b32 exec_lo, exec_lo, s3
	s_cbranch_execz .LBB22_939
.LBB22_959:
	v_cmp_ne_u16_e32 vcc_lo, 0, v3
	v_mov_b32_e32 v5, 0
	s_andn2_b32 s2, s2, exec_lo
	s_and_b32 s10, vcc_lo, exec_lo
	s_or_b32 s2, s2, s10
	s_or_b32 exec_lo, exec_lo, s3
	s_and_saveexec_b32 s3, s2
	s_cbranch_execnz .LBB22_940
	s_branch .LBB22_941
.LBB22_960:
	s_mov_b32 s1, -1
.LBB22_961:
                                        ; implicit-def: $vgpr5
.LBB22_962:
	s_and_b32 vcc_lo, exec_lo, s2
	s_mov_b32 s2, 0
	s_cbranch_vccz .LBB22_964
; %bb.963:
	s_cmp_lg_u32 s0, 11
	s_mov_b32 s2, -1
	s_cselect_b32 s0, -1, 0
	s_andn2_b32 s1, s1, exec_lo
	s_and_b32 s0, s0, exec_lo
	s_or_b32 s1, s1, s0
.LBB22_964:
	s_mov_b32 s0, 0
.LBB22_965:
	s_andn2_b32 s10, s43, exec_lo
	s_and_b32 s1, s1, exec_lo
	s_and_b32 s46, s3, exec_lo
	s_and_b32 s3, s0, exec_lo
	s_and_b32 s0, s2, exec_lo
	s_or_b32 s45, s10, s1
.LBB22_966:
	s_or_b32 exec_lo, exec_lo, s33
	s_and_b32 s1, s3, exec_lo
	s_andn2_b32 s3, s43, exec_lo
	s_waitcnt lgkmcnt(0)
	s_and_b32 s10, s45, exec_lo
	s_and_b32 s2, s46, exec_lo
	;; [unrolled: 1-line block ×3, first 2 shown]
	s_or_b32 s43, s3, s10
.LBB22_967:
	s_or_b32 exec_lo, exec_lo, s42
	s_andn2_b32 s3, s40, exec_lo
	s_waitcnt lgkmcnt(0)
	s_and_b32 s10, s44, exec_lo
	s_and_b32 s11, s43, exec_lo
	s_or_b32 s40, s3, s10
	s_andn2_b32 s10, s39, exec_lo
	s_and_b32 s3, s2, exec_lo
	s_and_b32 s2, s1, exec_lo
	;; [unrolled: 1-line block ×3, first 2 shown]
	s_or_b32 s39, s10, s11
.LBB22_968:
	s_or_b32 exec_lo, exec_lo, s41
	s_andn2_b32 s0, s36, exec_lo
	s_waitcnt lgkmcnt(0)
	s_and_b32 s10, s40, exec_lo
	s_and_b32 s2, s2, exec_lo
	s_or_b32 s36, s0, s10
	s_and_b32 s0, s3, exec_lo
	s_andn2_b32 s3, s37, exec_lo
	s_and_b32 s10, s39, exec_lo
	s_and_b32 s39, s1, exec_lo
	s_or_b32 s37, s3, s10
	s_or_b32 exec_lo, exec_lo, s38
	s_mov_b32 s3, 0
	s_and_saveexec_b32 s1, s37
	s_cbranch_execz .LBB22_290
.LBB22_969:
	s_mov_b32 s3, exec_lo
	s_andn2_b32 s39, s39, exec_lo
	s_trap 2
	s_or_b32 exec_lo, exec_lo, s1
	s_and_saveexec_b32 s1, s39
	s_xor_b32 s1, exec_lo, s1
	s_cbranch_execnz .LBB22_291
.LBB22_970:
	s_or_b32 exec_lo, exec_lo, s1
	s_and_saveexec_b32 s1, s2
	s_cbranch_execz .LBB22_1016
.LBB22_971:
	s_sext_i32_i16 s2, s30
	s_cmp_lt_i32 s2, 5
	s_cbranch_scc1 .LBB22_976
; %bb.972:
	s_cmp_lt_i32 s2, 8
	s_cbranch_scc1 .LBB22_977
; %bb.973:
	;; [unrolled: 3-line block ×3, first 2 shown]
	s_cmp_gt_i32 s2, 9
	s_cbranch_scc0 .LBB22_979
; %bb.975:
	global_load_dwordx2 v[3:4], v[1:2], off
	s_mov_b32 s2, 0
	s_waitcnt vmcnt(0)
	v_cvt_f32_f64_e32 v5, v[3:4]
	s_branch .LBB22_980
.LBB22_976:
                                        ; implicit-def: $vgpr5
	s_branch .LBB22_997
.LBB22_977:
                                        ; implicit-def: $vgpr5
	s_branch .LBB22_986
.LBB22_978:
	s_mov_b32 s2, -1
                                        ; implicit-def: $vgpr5
	s_branch .LBB22_983
.LBB22_979:
	s_mov_b32 s2, -1
                                        ; implicit-def: $vgpr5
.LBB22_980:
	s_andn2_b32 vcc_lo, exec_lo, s2
	s_cbranch_vccnz .LBB22_982
; %bb.981:
	global_load_dword v5, v[1:2], off
.LBB22_982:
	s_mov_b32 s2, 0
.LBB22_983:
	s_andn2_b32 vcc_lo, exec_lo, s2
	s_cbranch_vccnz .LBB22_985
; %bb.984:
	global_load_dword v3, v[1:2], off
	s_waitcnt vmcnt(0)
	v_cvt_f32_f16_e32 v5, v3
.LBB22_985:
	s_cbranch_execnz .LBB22_996
.LBB22_986:
	s_sext_i32_i16 s2, s30
	s_cmp_lt_i32 s2, 6
	s_cbranch_scc1 .LBB22_989
; %bb.987:
	s_cmp_gt_i32 s2, 6
	s_cbranch_scc0 .LBB22_990
; %bb.988:
	global_load_dwordx2 v[3:4], v[1:2], off
	s_mov_b32 s2, 0
	s_waitcnt vmcnt(0)
	v_cvt_f32_f64_e32 v5, v[3:4]
	s_branch .LBB22_991
.LBB22_989:
	s_mov_b32 s2, -1
                                        ; implicit-def: $vgpr5
	s_branch .LBB22_994
.LBB22_990:
	s_mov_b32 s2, -1
                                        ; implicit-def: $vgpr5
.LBB22_991:
	s_andn2_b32 vcc_lo, exec_lo, s2
	s_cbranch_vccnz .LBB22_993
; %bb.992:
	global_load_dword v5, v[1:2], off
.LBB22_993:
	s_mov_b32 s2, 0
.LBB22_994:
	s_andn2_b32 vcc_lo, exec_lo, s2
	s_cbranch_vccnz .LBB22_996
; %bb.995:
	global_load_ushort v3, v[1:2], off
	s_waitcnt vmcnt(0)
	v_cvt_f32_f16_e32 v5, v3
.LBB22_996:
	s_cbranch_execnz .LBB22_1015
.LBB22_997:
	s_sext_i32_i16 s2, s30
	s_cmp_lt_i32 s2, 2
	s_cbranch_scc1 .LBB22_1001
; %bb.998:
	s_cmp_lt_i32 s2, 3
	s_cbranch_scc1 .LBB22_1002
; %bb.999:
	s_cmp_gt_i32 s2, 3
	s_cbranch_scc0 .LBB22_1003
; %bb.1000:
	global_load_dwordx2 v[3:4], v[1:2], off
	s_mov_b32 s2, 0
	s_waitcnt vmcnt(0)
	v_xor_b32_e32 v5, v3, v4
	v_ffbh_i32_e32 v6, v4
	v_ashrrev_i32_e32 v5, 31, v5
	v_add_nc_u32_e32 v6, -1, v6
	v_add_nc_u32_e32 v5, 32, v5
	v_min_u32_e32 v5, v6, v5
	v_lshlrev_b64 v[3:4], v5, v[3:4]
	v_min_u32_e32 v3, 1, v3
	v_or_b32_e32 v3, v4, v3
	v_sub_nc_u32_e32 v4, 32, v5
	v_cvt_f32_i32_e32 v3, v3
	v_ldexp_f32 v5, v3, v4
	s_branch .LBB22_1004
.LBB22_1001:
                                        ; implicit-def: $vgpr5
	s_branch .LBB22_1010
.LBB22_1002:
	s_mov_b32 s2, -1
                                        ; implicit-def: $vgpr5
	s_branch .LBB22_1007
.LBB22_1003:
	s_mov_b32 s2, -1
                                        ; implicit-def: $vgpr5
.LBB22_1004:
	s_andn2_b32 vcc_lo, exec_lo, s2
	s_cbranch_vccnz .LBB22_1006
; %bb.1005:
	global_load_dword v3, v[1:2], off
	s_waitcnt vmcnt(0)
	v_cvt_f32_i32_e32 v5, v3
.LBB22_1006:
	s_mov_b32 s2, 0
.LBB22_1007:
	s_andn2_b32 vcc_lo, exec_lo, s2
	s_cbranch_vccnz .LBB22_1009
; %bb.1008:
	global_load_sshort v3, v[1:2], off
	s_waitcnt vmcnt(0)
	v_cvt_f32_i32_e32 v5, v3
.LBB22_1009:
	s_cbranch_execnz .LBB22_1015
.LBB22_1010:
	s_sext_i32_i16 s2, s30
	s_cmp_gt_i32 s2, 0
	s_mov_b32 s2, 0
	s_cbranch_scc0 .LBB22_1012
; %bb.1011:
	global_load_sbyte v3, v[1:2], off
	s_waitcnt vmcnt(0)
	v_cvt_f32_i32_e32 v5, v3
	s_branch .LBB22_1013
.LBB22_1012:
	s_mov_b32 s2, -1
                                        ; implicit-def: $vgpr5
.LBB22_1013:
	s_andn2_b32 vcc_lo, exec_lo, s2
	s_cbranch_vccnz .LBB22_1015
; %bb.1014:
	global_load_ubyte v1, v[1:2], off
	s_waitcnt vmcnt(0)
	v_cvt_f32_ubyte0_e32 v5, v1
.LBB22_1015:
	s_or_b32 s0, s0, exec_lo
.LBB22_1016:
	s_or_b32 exec_lo, exec_lo, s1
	s_waitcnt lgkmcnt(0)
	s_mov_b32 s11, 0
	s_mov_b32 s2, 0
                                        ; implicit-def: $sgpr1
                                        ; implicit-def: $vgpr3_vgpr4
                                        ; implicit-def: $vgpr1
	s_and_saveexec_b32 s10, s0
	s_cbranch_execz .LBB22_1026
; %bb.1017:
                                        ; implicit-def: $vgpr1
	s_mov_b32 s0, exec_lo
	s_waitcnt vmcnt(0)
	v_cmpx_ge_f32_e32 0x40a00000, v5
	s_xor_b32 s11, exec_lo, s0
	s_cbranch_execz .LBB22_1023
; %bb.1018:
	v_mov_b32_e32 v1, 0xff800000
	s_mov_b32 s12, exec_lo
	v_cmpx_neq_f32_e32 0, v5
	s_cbranch_execz .LBB22_1022
; %bb.1019:
	v_mov_b32_e32 v1, 0x7fc00000
	s_mov_b32 s13, exec_lo
	v_cmpx_nge_f32_e32 0, v5
	s_cbranch_execz .LBB22_1021
; %bb.1020:
	v_mul_f32_e32 v1, v5, v5
	v_cmp_gt_f32_e64 s0, 0x800000, v5
	v_div_scale_f32 v11, null, v5, v5, -1.0
	v_div_scale_f32 v20, s2, -1.0, v5, -1.0
	v_fmaak_f32 v2, 0, v1, 0x4414934d
	v_fmaak_f32 v3, 0, v1, 0x441b3589
	;; [unrolled: 1-line block ×4, first 2 shown]
	v_cndmask_b32_e64 v10, 0, 32, s0
	v_fmaak_f32 v2, v1, v2, 0x48660b06
	v_fmaak_f32 v3, v1, v3, 0x487af6d0
	;; [unrolled: 1-line block ×4, first 2 shown]
	v_rcp_f32_e32 v12, v11
	v_fmaak_f32 v2, v1, v2, 0x4c8c277d
	v_fmaak_f32 v3, v1, v3, 0x4c9f4aa7
	;; [unrolled: 1-line block ×4, first 2 shown]
	v_ldexp_f32 v10, v5, v10
	v_fmaak_f32 v2, v1, v2, 0x508bc61d
	v_fmaak_f32 v3, v1, v3, 0x50a509fc
	;; [unrolled: 1-line block ×4, first 2 shown]
	v_log_f32_e32 v10, v10
	v_fmaak_f32 v2, v1, v2, 0x5461faf8
	v_fmaak_f32 v3, v1, v3, 0x548a37dc
	;; [unrolled: 1-line block ×3, first 2 shown]
	v_fma_f32 v17, -v11, v12, 1.0
	v_fmaak_f32 v2, v1, v2, 0x580d1937
	v_fmaak_f32 v3, v1, v3, 0x58325852
	;; [unrolled: 1-line block ×3, first 2 shown]
	v_fmac_f32_e32 v12, v17, v12
	v_mul_f32_e32 v21, 0x3f317217, v10
	v_fmaak_f32 v2, v1, v2, 0x5b741f1e
	v_fmaak_f32 v3, v1, v3, 0x5b9f0600
	v_fma_f32 v17, 0x3f317217, v10, -v21
	v_fmaak_f32 v2, v1, v2, 0x5e5c878d
	v_fmaak_f32 v1, v1, v3, 0x5e93bcac
	v_div_scale_f32 v3, null, v2, v2, v4
	v_div_scale_f32 v7, null, v1, v1, v6
	v_div_scale_f32 v15, vcc_lo, v4, v2, v4
	v_rcp_f32_e32 v8, v3
	v_rcp_f32_e32 v9, v7
	v_div_scale_f32 v16, s1, v6, v1, v6
	v_fma_f32 v13, -v3, v8, 1.0
	v_fma_f32 v14, -v7, v9, 1.0
	v_fmac_f32_e32 v8, v13, v8
	v_fmac_f32_e32 v9, v14, v9
	v_mul_f32_e32 v13, v15, v8
	v_mul_f32_e32 v14, v16, v9
	v_fma_f32 v18, -v3, v13, v15
	v_fma_f32 v19, -v7, v14, v16
	v_fmac_f32_e32 v13, v18, v8
	v_fmac_f32_e32 v14, v19, v9
	v_fma_f32 v3, -v3, v13, v15
	v_mul_f32_e32 v15, v20, v12
	v_fma_f32 v7, -v7, v14, v16
	v_div_fmas_f32 v3, v3, v8, v13
	s_mov_b32 vcc_lo, s1
	v_fma_f32 v8, -v11, v15, v20
	v_div_fmas_f32 v7, v7, v9, v14
	v_fmamk_f32 v9, v10, 0x3377d1cf, v17
	v_cmp_gt_f32_e64 vcc_lo, 0x7f800000, |v10|
	v_div_fixup_f32 v2, v3, v2, v4
	v_fmac_f32_e32 v15, v8, v12
	v_div_fixup_f32 v1, v7, v1, v6
	v_fmac_f32_e32 v9, 0x3f317217, v10
	v_fmaak_f32 v6, v5, v5, 0xc16ae95a
	v_fmaak_f32 v7, v5, v5, 0xc244dfb3
	v_fma_f32 v11, -v11, v15, v20
	v_mul_f32_e32 v1, v5, v1
	v_cndmask_b32_e32 v9, v10, v9, vcc_lo
	s_mov_b32 vcc_lo, s2
	v_cndmask_b32_e64 v8, 0, 0x41b17218, s0
	v_mul_f32_e32 v1, v6, v1
	v_div_fmas_f32 v6, v11, v12, v15
	v_sub_f32_e32 v8, v9, v8
	v_mul_f32_e32 v1, v7, v1
	v_div_fixup_f32 v6, v6, v5, -1.0
	v_fmac_f32_e32 v6, v8, v1
	v_mul_f32_e32 v1, 0x3f22f983, v6
	v_fmac_f32_e32 v1, v5, v2
.LBB22_1021:
	s_or_b32 exec_lo, exec_lo, s13
.LBB22_1022:
	s_or_b32 exec_lo, exec_lo, s12
                                        ; implicit-def: $vgpr5
.LBB22_1023:
	s_andn2_saveexec_b32 s11, s11
	s_cbranch_execz .LBB22_1036
; %bb.1024:
	v_add_f32_e32 v1, 0xc016cbe4, v5
                                        ; implicit-def: $vgpr4
                                        ; implicit-def: $vgpr3
	v_and_b32_e32 v2, 0x7fffffff, v1
	v_cmp_ngt_f32_e64 s2, 0x48000000, |v1|
	s_and_saveexec_b32 s0, s2
	s_xor_b32 s12, exec_lo, s0
	s_cbranch_execz .LBB22_1029
; %bb.1025:
	s_mov_b32 s0, 0x7fffff
	v_mov_b32_e32 v7, 0
	v_and_or_b32 v14, v2, s0, 0x800000
	v_mad_u64_u32 v[3:4], null, 0xfe5163ab, v14, 0
	v_mov_b32_e32 v6, v4
	v_lshrrev_b32_e32 v4, 23, v2
	v_mad_u64_u32 v[8:9], null, 0x3c439041, v14, v[6:7]
	v_add_nc_u32_e32 v4, 0xffffff88, v4
	v_cmp_lt_u32_e32 vcc_lo, 63, v4
	v_mov_b32_e32 v6, v9
	v_cndmask_b32_e64 v13, 0, 0xffffffc0, vcc_lo
	v_mad_u64_u32 v[9:10], null, 0xdb629599, v14, v[6:7]
	v_add_nc_u32_e32 v4, v13, v4
	v_mov_b32_e32 v6, v10
	v_cmp_lt_u32_e64 s0, 31, v4
	v_cndmask_b32_e32 v3, v9, v3, vcc_lo
	v_mad_u64_u32 v[10:11], null, 0xf534ddc0, v14, v[6:7]
	v_cndmask_b32_e64 v15, 0, 0xffffffe0, s0
	v_add_nc_u32_e32 v4, v15, v4
	v_mov_b32_e32 v6, v11
	v_cndmask_b32_e32 v8, v10, v8, vcc_lo
	v_cmp_lt_u32_e64 s1, 31, v4
	v_mad_u64_u32 v[11:12], null, 0xfc2757d1, v14, v[6:7]
	v_cndmask_b32_e64 v3, v8, v3, s0
	v_mov_b32_e32 v6, v12
	v_mad_u64_u32 v[12:13], null, 0x4e441529, v14, v[6:7]
	v_mov_b32_e32 v6, v13
	v_cndmask_b32_e64 v13, 0, 0xffffffe0, s1
	v_mad_u64_u32 v[6:7], null, 0xa2f9836e, v14, v[6:7]
	v_cndmask_b32_e32 v14, v12, v10, vcc_lo
	v_add_nc_u32_e32 v4, v13, v4
	v_cndmask_b32_e32 v6, v6, v11, vcc_lo
	v_cndmask_b32_e32 v7, v7, v12, vcc_lo
	;; [unrolled: 1-line block ×3, first 2 shown]
	v_sub_nc_u32_e32 v12, 32, v4
	v_cmp_eq_u32_e32 vcc_lo, 0, v4
	v_cndmask_b32_e64 v10, v6, v14, s0
	v_cndmask_b32_e64 v6, v7, v6, s0
	;; [unrolled: 1-line block ×8, first 2 shown]
	v_alignbit_b32 v13, v6, v10, v12
	v_alignbit_b32 v9, v10, v7, v12
	;; [unrolled: 1-line block ×3, first 2 shown]
	v_cndmask_b32_e32 v4, v13, v6, vcc_lo
	v_cndmask_b32_e32 v6, v9, v10, vcc_lo
	;; [unrolled: 1-line block ×3, first 2 shown]
	v_bfe_u32 v8, v4, 29, 1
	v_alignbit_b32 v9, v4, v6, 30
	v_alignbit_b32 v6, v6, v7, 30
	;; [unrolled: 1-line block ×3, first 2 shown]
	v_sub_nc_u32_e32 v10, 0, v8
	v_xor_b32_e32 v9, v9, v10
	v_xor_b32_e32 v6, v6, v10
	v_xor_b32_e32 v3, v3, v10
	v_lshrrev_b32_e32 v10, 29, v4
	v_lshrrev_b32_e32 v4, 30, v4
	v_ffbh_u32_e32 v11, v9
	v_add_nc_u32_e32 v4, v8, v4
	v_min_u32_e32 v11, 32, v11
	v_sub_nc_u32_e32 v7, 31, v11
	v_lshlrev_b32_e32 v12, 23, v11
	v_alignbit_b32 v9, v9, v6, v7
	v_alignbit_b32 v3, v6, v3, v7
	v_lshlrev_b32_e32 v6, 31, v10
	v_alignbit_b32 v7, v9, v3, 9
	v_or_b32_e32 v10, 0.5, v6
	v_lshrrev_b32_e32 v9, 9, v9
	v_or_b32_e32 v6, 0x33000000, v6
	v_ffbh_u32_e32 v13, v7
	v_sub_nc_u32_e32 v10, v10, v12
	v_min_u32_e32 v12, 32, v13
	v_or_b32_e32 v9, v9, v10
	v_not_b32_e32 v10, v12
	v_mul_f32_e32 v13, 0x3fc90fda, v9
	v_add_lshl_u32 v11, v12, v11, 23
	v_alignbit_b32 v3, v7, v3, v10
	v_fma_f32 v7, 0x3fc90fda, v9, -v13
	v_sub_nc_u32_e32 v6, v6, v11
	v_lshrrev_b32_e32 v3, 9, v3
	v_fmamk_f32 v7, v9, 0x33a22168, v7
	v_or_b32_e32 v3, v6, v3
	v_fmac_f32_e32 v7, 0x3fc90fda, v3
	v_add_f32_e32 v3, v13, v7
	s_andn2_saveexec_b32 s0, s12
	s_branch .LBB22_1030
.LBB22_1026:
	s_or_b32 exec_lo, exec_lo, s10
	s_and_saveexec_b32 s0, s36
	s_cbranch_execnz .LBB22_1113
.LBB22_1027:
	s_or_b32 exec_lo, exec_lo, s0
	s_and_saveexec_b32 s0, s11
	s_xor_b32 s0, exec_lo, s0
	s_cbranch_execz .LBB22_1114
.LBB22_1028:
	v_cmp_neq_f32_e32 vcc_lo, 0, v1
	v_cndmask_b32_e64 v0, 0, 1, vcc_lo
	s_waitcnt vmcnt(0)
	global_store_byte v[3:4], v0, off
	s_or_b32 exec_lo, exec_lo, s0
	s_and_saveexec_b32 s0, s2
	s_xor_b32 s0, exec_lo, s0
	s_cbranch_execz .LBB22_1152
	s_branch .LBB22_1115
.LBB22_1029:
	s_andn2_saveexec_b32 s0, s12
.LBB22_1030:
	v_mul_f32_e64 v3, 0x3f22f983, |v1|
	v_rndne_f32_e32 v4, v3
	v_fma_f32 v3, 0xbfc90fda, v4, |v1|
	v_fmamk_f32 v3, v4, 0xb3a22168, v3
	v_fmamk_f32 v3, v4, 0xa7c234c4, v3
	v_cvt_i32_f32_e32 v4, v4
; %bb.1031:
	s_or_b32 exec_lo, exec_lo, s0
                                        ; implicit-def: $vgpr7
                                        ; implicit-def: $vgpr6
	s_and_saveexec_b32 s0, s2
	s_xor_b32 s2, exec_lo, s0
	s_cbranch_execz .LBB22_1033
; %bb.1032:
	s_mov_b32 s0, 0x7fffff
	v_mov_b32_e32 v8, 0
	v_and_or_b32 v15, v2, s0, 0x800000
	v_lshrrev_b32_e32 v13, 23, v2
	v_mad_u64_u32 v[6:7], null, 0xfe5163ab, v15, 0
	v_add_nc_u32_e32 v14, 0xffffff88, v13
	v_cmp_lt_u32_e32 vcc_lo, 63, v14
	v_mad_u64_u32 v[9:10], null, 0x3c439041, v15, v[7:8]
	v_cndmask_b32_e64 v16, 0, 0xffffffc0, vcc_lo
	v_mov_b32_e32 v7, v10
	v_add_nc_u32_e32 v16, v16, v14
	v_mad_u64_u32 v[10:11], null, 0xdb629599, v15, v[7:8]
	v_cmp_lt_u32_e64 s0, 31, v16
	v_cndmask_b32_e64 v17, 0, 0xffffffe0, s0
	v_mov_b32_e32 v7, v11
	v_cndmask_b32_e32 v6, v10, v6, vcc_lo
	v_mad_u64_u32 v[11:12], null, 0xf534ddc0, v15, v[7:8]
	v_mov_b32_e32 v7, v12
	v_cndmask_b32_e32 v9, v11, v9, vcc_lo
	v_mad_u64_u32 v[12:13], null, 0xfc2757d1, v15, v[7:8]
	v_cndmask_b32_e64 v6, v9, v6, s0
	v_mov_b32_e32 v7, v13
	v_mad_u64_u32 v[13:14], null, 0x4e441529, v15, v[7:8]
	v_mov_b32_e32 v7, v14
	v_add_nc_u32_e32 v14, v17, v16
	v_cndmask_b32_e32 v16, v13, v11, vcc_lo
	v_mad_u64_u32 v[7:8], null, 0xa2f9836e, v15, v[7:8]
	v_cmp_lt_u32_e64 s1, 31, v14
	v_cndmask_b32_e64 v15, 0, 0xffffffe0, s1
	v_cndmask_b32_e32 v7, v7, v12, vcc_lo
	v_cndmask_b32_e32 v8, v8, v13, vcc_lo
	;; [unrolled: 1-line block ×3, first 2 shown]
	v_add_nc_u32_e32 v13, v15, v14
	v_cndmask_b32_e64 v11, v7, v16, s0
	v_cndmask_b32_e64 v7, v8, v7, s0
	;; [unrolled: 1-line block ×4, first 2 shown]
	v_sub_nc_u32_e32 v14, 32, v13
	v_cmp_eq_u32_e32 vcc_lo, 0, v13
	v_cndmask_b32_e64 v7, v7, v11, s1
	v_cndmask_b32_e64 v11, v11, v8, s1
	;; [unrolled: 1-line block ×4, first 2 shown]
	v_alignbit_b32 v15, v7, v11, v14
	v_alignbit_b32 v10, v11, v8, v14
	;; [unrolled: 1-line block ×3, first 2 shown]
	v_cndmask_b32_e32 v7, v15, v7, vcc_lo
	v_cndmask_b32_e32 v9, v10, v11, vcc_lo
	;; [unrolled: 1-line block ×3, first 2 shown]
	v_bfe_u32 v10, v7, 29, 1
	v_alignbit_b32 v11, v7, v9, 30
	v_alignbit_b32 v9, v9, v8, 30
	;; [unrolled: 1-line block ×3, first 2 shown]
	v_sub_nc_u32_e32 v12, 0, v10
	v_xor_b32_e32 v11, v11, v12
	v_xor_b32_e32 v8, v9, v12
	;; [unrolled: 1-line block ×3, first 2 shown]
	v_lshrrev_b32_e32 v12, 29, v7
	v_lshrrev_b32_e32 v7, 30, v7
	v_ffbh_u32_e32 v13, v11
	v_add_nc_u32_e32 v7, v10, v7
	v_min_u32_e32 v13, 32, v13
	v_sub_nc_u32_e32 v9, 31, v13
	v_lshlrev_b32_e32 v14, 23, v13
	v_alignbit_b32 v11, v11, v8, v9
	v_alignbit_b32 v6, v8, v6, v9
	v_lshlrev_b32_e32 v8, 31, v12
	v_alignbit_b32 v9, v11, v6, 9
	v_or_b32_e32 v12, 0.5, v8
	v_lshrrev_b32_e32 v11, 9, v11
	v_or_b32_e32 v8, 0x33000000, v8
	v_ffbh_u32_e32 v15, v9
	v_sub_nc_u32_e32 v12, v12, v14
	v_min_u32_e32 v14, 32, v15
	v_or_b32_e32 v11, v11, v12
	v_not_b32_e32 v12, v14
	v_mul_f32_e32 v15, 0x3fc90fda, v11
	v_add_lshl_u32 v13, v14, v13, 23
	v_alignbit_b32 v6, v9, v6, v12
	v_fma_f32 v9, 0x3fc90fda, v11, -v15
	v_sub_nc_u32_e32 v8, v8, v13
	v_lshrrev_b32_e32 v6, 9, v6
	v_fmamk_f32 v9, v11, 0x33a22168, v9
	v_or_b32_e32 v6, v8, v6
	v_fmac_f32_e32 v9, 0x3fc90fda, v6
	v_add_f32_e32 v6, v15, v9
	s_andn2_saveexec_b32 s0, s2
	s_cbranch_execnz .LBB22_1034
	s_branch .LBB22_1035
.LBB22_1033:
	s_andn2_saveexec_b32 s0, s2
.LBB22_1034:
	v_mul_f32_e64 v6, 0x3f22f983, |v1|
	v_rndne_f32_e32 v7, v6
	v_fma_f32 v6, 0xbfc90fda, v7, |v1|
	v_fmamk_f32 v6, v7, 0xb3a22168, v6
	v_fmamk_f32 v6, v7, 0xa7c234c4, v6
	v_cvt_i32_f32_e32 v7, v7
.LBB22_1035:
	s_or_b32 exec_lo, exec_lo, s0
	v_div_scale_f32 v8, null, v5, v5, 0x40a00000
	v_div_scale_f32 v11, vcc_lo, 0x40a00000, v5, 0x40a00000
	s_mov_b32 s0, 0xb94c1982
	v_rcp_f32_e32 v9, v8
	v_mul_f32_e32 v18, 0x4f800000, v5
	s_mov_b32 s1, 0x37d75334
	v_and_b32_e32 v13, 1, v7
	v_xor_b32_e32 v2, v2, v1
	v_lshlrev_b32_e32 v7, 30, v7
	v_and_b32_e32 v7, 0x80000000, v7
	v_fma_f32 v10, -v8, v9, 1.0
	v_fmac_f32_e32 v9, v10, v9
	v_mul_f32_e32 v10, v11, v9
	v_fma_f32 v12, -v8, v10, v11
	v_fmac_f32_e32 v10, v12, v9
	v_mul_f32_e32 v12, v6, v6
	v_fma_f32 v8, -v8, v10, v11
	v_fmaak_f32 v21, s0, v12, 0x3c0881c4
	v_fmaak_f32 v22, s1, v12, 0xbab64f3b
	v_div_fmas_f32 v8, v8, v9, v10
	v_mul_f32_e32 v9, v3, v3
	v_fmaak_f32 v22, v12, v22, 0x3d2aabf7
	v_and_b32_e32 v10, 1, v4
	v_fmaak_f32 v21, v12, v21, 0xbe2aaa9d
	v_div_fixup_f32 v8, v8, v5, 0x40a00000
	v_fmaak_f32 v19, s0, v9, 0x3c0881c4
	v_cmp_gt_f32_e64 s0, 0xf800000, v5
	v_fmaak_f32 v20, s1, v9, 0xbab64f3b
	v_fmaak_f32 v22, v12, v22, 0xbf000004
	v_mul_f32_e32 v11, v8, v8
	v_fmaak_f32 v19, v9, v19, 0xbe2aaa9d
	v_cndmask_b32_e64 v5, v5, v18, s0
	v_fmaak_f32 v20, v9, v20, 0x3d2aabf7
	v_mul_f32_e32 v21, v12, v21
	v_fmaak_f32 v14, 0, v11, 0x3d513fd3
	v_fmaak_f32 v15, 0, v11, 0x3a15c4d9
	;; [unrolled: 1-line block ×4, first 2 shown]
	v_mul_f32_e32 v19, v9, v19
	v_fmaak_f32 v14, v11, v14, 0x409f6dae
	v_fmaak_f32 v15, v11, v15, 0x3d8cfeeb
	;; [unrolled: 1-line block ×9, first 2 shown]
	v_fmac_f32_e32 v3, v3, v19
	v_fmaak_f32 v14, v11, v14, 0x43b763ca
	v_fmaak_f32 v15, v11, v15, 0x40a25d18
	;; [unrolled: 1-line block ×4, first 2 shown]
	v_sqrt_f32_e32 v25, v5
	v_fmaak_f32 v14, v11, v14, 0x4431b6ce
	v_fmaak_f32 v15, v11, v15, 0x410665cf
	v_fmaak_f32 v16, v11, v16, 0x4106c8e4
	v_fmaak_f32 v17, v11, v17, 0x45f9e855
	v_fma_f32 v9, v9, v20, 1.0
	v_fmaak_f32 v14, v11, v14, 0x44155f56
	v_fmaak_f32 v15, v11, v15, 0x40a6b6ea
	;; [unrolled: 1-line block ×4, first 2 shown]
	v_fma_f32 v12, v12, v22, 1.0
	v_fmaak_f32 v14, v11, v14, 0x4353b052
	v_fma_f32 v15, v11, v15, 1.0
	v_fma_f32 v16, v11, v16, 1.0
	v_fmaak_f32 v17, v11, v17, 0x43a80bfb
	v_cmp_eq_u32_e64 s2, 0, v10
	v_fmaak_f32 v11, v11, v14, 0x41c9a7fa
	v_lshlrev_b32_e32 v4, 30, v4
	v_div_scale_f32 v14, null, v15, v15, v16
	v_div_scale_f32 v28, vcc_lo, v16, v15, v16
	v_div_scale_f32 v23, null, v17, v17, v11
	v_rcp_f32_e32 v18, v14
	v_fmac_f32_e32 v6, v6, v21
	v_cndmask_b32_e64 v3, v9, v3, s2
	v_rcp_f32_e32 v24, v23
	v_cmp_eq_u32_e64 s2, 0, v13
	v_and_b32_e32 v4, 0x80000000, v4
	v_add_nc_u32_e32 v21, -1, v25
	v_cndmask_b32_e64 v6, -v6, v12, s2
	v_fma_f32 v26, -v14, v18, 1.0
	v_fma_f32 v9, -v21, v25, v5
	v_xor3_b32 v2, v2, v4, v3
	v_fma_f32 v27, -v23, v24, 1.0
	v_xor_b32_e32 v6, v7, v6
	v_fmac_f32_e32 v18, v26, v18
	v_div_scale_f32 v26, s1, v11, v17, v11
	v_fmac_f32_e32 v24, v27, v24
	v_add_nc_u32_e32 v27, 1, v25
	v_mul_f32_e32 v19, v28, v18
	v_mul_f32_e32 v20, v26, v24
	v_fma_f32 v10, -v27, v25, v5
	v_fma_f32 v22, -v14, v19, v28
	v_fma_f32 v29, -v23, v20, v26
	v_fmac_f32_e32 v19, v22, v18
	v_fmac_f32_e32 v20, v29, v24
	v_fma_f32 v12, -v14, v19, v28
	v_fma_f32 v3, -v23, v20, v26
	v_div_fmas_f32 v4, v12, v18, v19
	s_mov_b32 vcc_lo, s1
	v_cmp_ge_f32_e64 s1, 0, v9
	v_div_fmas_f32 v3, v3, v24, v20
	v_cmp_class_f32_e64 vcc_lo, v1, 0x1f8
	v_div_fixup_f32 v4, v4, v15, v16
	v_cndmask_b32_e64 v1, v25, v21, s1
	v_div_fixup_f32 v3, v3, v17, v11
	v_cmp_lt_f32_e64 s1, 0, v10
	v_cndmask_b32_e32 v6, 0x7fc00000, v6, vcc_lo
	v_cndmask_b32_e32 v2, 0x7fc00000, v2, vcc_lo
	v_cmp_class_f32_e64 vcc_lo, v5, 0x260
	v_mul_f32_e32 v3, v8, v3
	v_cndmask_b32_e64 v1, v1, v27, s1
	v_mul_f32_e32 v3, v3, v6
	v_mul_f32_e32 v7, 0x37800000, v1
	v_fmac_f32_e32 v3, v4, v2
	v_cndmask_b32_e64 v1, v1, v7, s0
	v_mul_f32_e32 v2, 0x3f4c422a, v3
	v_cndmask_b32_e32 v1, v1, v5, vcc_lo
	v_div_scale_f32 v3, null, v1, v1, v2
	v_rcp_f32_e32 v4, v3
	v_fma_f32 v5, -v3, v4, 1.0
	v_fmac_f32_e32 v4, v5, v4
	v_div_scale_f32 v5, vcc_lo, v2, v1, v2
	v_mul_f32_e32 v6, v5, v4
	v_fma_f32 v7, -v3, v6, v5
	v_fmac_f32_e32 v6, v7, v4
	v_fma_f32 v3, -v3, v6, v5
	v_div_fmas_f32 v3, v3, v4, v6
	v_div_fixup_f32 v1, v3, v1, v2
.LBB22_1036:
	s_or_b32 exec_lo, exec_lo, s11
	v_add_co_u32 v3, s0, s8, v0
	v_add_co_ci_u32_e64 v4, null, s9, 0, s0
	s_and_b32 s1, s29, 0xff
	s_cmp_lt_i32 s1, 11
	s_cbranch_scc1 .LBB22_1043
; %bb.1037:
	s_and_b32 s2, 0xffff, s1
	s_mov_b32 s8, -1
	s_cmp_gt_i32 s2, 25
	s_mov_b32 s0, s36
	s_cbranch_scc0 .LBB22_1071
; %bb.1038:
	s_cmp_gt_i32 s2, 28
	s_mov_b32 s0, s36
	s_cbranch_scc0 .LBB22_1055
; %bb.1039:
	;; [unrolled: 4-line block ×4, first 2 shown]
	s_cmp_eq_u32 s2, 46
	s_mov_b32 s0, -1
	s_cbranch_scc0 .LBB22_1044
; %bb.1042:
	v_bfe_u32 v0, v1, 16, 1
	v_cmp_o_f32_e32 vcc_lo, v1, v1
	v_mov_b32_e32 v2, 0x7fc0
	s_mov_b32 s0, 0
	s_mov_b32 s8, 0
	v_add3_u32 v0, v1, v0, 0x7fff
	v_cndmask_b32_sdwa v0, v2, v0, vcc_lo dst_sel:DWORD dst_unused:UNUSED_PAD src0_sel:DWORD src1_sel:WORD_1
	global_store_dword v[3:4], v0, off
	s_branch .LBB22_1045
.LBB22_1043:
	s_mov_b32 s9, 0
	s_mov_b32 s8, -1
	s_mov_b32 s0, s36
	s_branch .LBB22_1112
.LBB22_1044:
	s_mov_b32 s8, 0
.LBB22_1045:
	s_and_b32 vcc_lo, exec_lo, s8
	s_cbranch_vccz .LBB22_1050
; %bb.1046:
	s_cmp_eq_u32 s2, 44
	s_mov_b32 s0, -1
	s_cbranch_scc0 .LBB22_1050
; %bb.1047:
	v_bfe_u32 v2, v1, 23, 8
	v_mov_b32_e32 v0, 0xff
	s_mov_b32 s8, exec_lo
	v_cmpx_ne_u32_e32 0xff, v2
	s_cbranch_execz .LBB22_1049
; %bb.1048:
	v_and_b32_e32 v0, 0x400000, v1
	v_and_or_b32 v2, 0x3fffff, v1, v2
	v_cmp_ne_u32_e32 vcc_lo, 0, v0
	v_cmp_ne_u32_e64 s0, 0, v2
	v_lshrrev_b32_e32 v0, 23, v1
	s_and_b32 s0, vcc_lo, s0
	v_cndmask_b32_e64 v2, 0, 1, s0
	v_add_nc_u32_e32 v0, v0, v2
.LBB22_1049:
	s_or_b32 exec_lo, exec_lo, s8
	s_mov_b32 s0, 0
	global_store_byte v[3:4], v0, off
.LBB22_1050:
	s_mov_b32 s8, 0
.LBB22_1051:
	s_and_b32 vcc_lo, exec_lo, s8
	s_cbranch_vccz .LBB22_1054
; %bb.1052:
	s_cmp_eq_u32 s2, 29
	s_mov_b32 s0, -1
	s_cbranch_scc0 .LBB22_1054
; %bb.1053:
	v_trunc_f32_e32 v0, v1
	s_mov_b32 s0, 0
	s_mov_b32 s8, 0
	v_mul_f32_e32 v2, 0x2f800000, v0
	v_floor_f32_e32 v2, v2
	v_fmamk_f32 v0, v2, 0xcf800000, v0
	v_cvt_u32_f32_e32 v6, v2
	v_cvt_u32_f32_e32 v5, v0
	global_store_dwordx2 v[3:4], v[5:6], off
	s_branch .LBB22_1055
.LBB22_1054:
	s_mov_b32 s8, 0
.LBB22_1055:
	s_and_b32 vcc_lo, exec_lo, s8
	s_cbranch_vccz .LBB22_1070
; %bb.1056:
	s_cmp_lt_i32 s2, 27
	s_mov_b32 s8, -1
	s_cbranch_scc1 .LBB22_1062
; %bb.1057:
	s_cmp_gt_i32 s2, 27
	s_cbranch_scc0 .LBB22_1059
; %bb.1058:
	v_cvt_u32_f32_e32 v0, v1
	s_mov_b32 s8, 0
	global_store_dword v[3:4], v0, off
.LBB22_1059:
	s_andn2_b32 vcc_lo, exec_lo, s8
	s_cbranch_vccnz .LBB22_1061
; %bb.1060:
	v_cvt_u32_f32_e32 v0, v1
	global_store_short v[3:4], v0, off
.LBB22_1061:
	s_mov_b32 s8, 0
.LBB22_1062:
	s_andn2_b32 vcc_lo, exec_lo, s8
	s_cbranch_vccnz .LBB22_1070
; %bb.1063:
	v_and_b32_e32 v0, 0x7fffffff, v1
	v_mov_b32_e32 v2, 0x80
	s_mov_b32 s8, exec_lo
	v_cmpx_gt_u32_e32 0x43800000, v0
	s_cbranch_execz .LBB22_1069
; %bb.1064:
	v_cmp_lt_u32_e32 vcc_lo, 0x3bffffff, v0
	s_mov_b32 s9, 0
                                        ; implicit-def: $vgpr0
	s_and_saveexec_b32 s11, vcc_lo
	s_xor_b32 s11, exec_lo, s11
	s_cbranch_execz .LBB22_1223
; %bb.1065:
	v_bfe_u32 v0, v1, 20, 1
	s_mov_b32 s9, exec_lo
	v_add3_u32 v0, v1, v0, 0x487ffff
	v_lshrrev_b32_e32 v0, 20, v0
	s_andn2_saveexec_b32 s11, s11
	s_cbranch_execnz .LBB22_1224
.LBB22_1066:
	s_or_b32 exec_lo, exec_lo, s11
	v_mov_b32_e32 v2, 0
	s_and_saveexec_b32 s11, s9
.LBB22_1067:
	v_lshrrev_b32_e32 v2, 24, v1
	v_and_or_b32 v2, 0x80, v2, v0
.LBB22_1068:
	s_or_b32 exec_lo, exec_lo, s11
.LBB22_1069:
	s_or_b32 exec_lo, exec_lo, s8
	global_store_byte v[3:4], v2, off
.LBB22_1070:
	s_mov_b32 s8, 0
.LBB22_1071:
	s_and_b32 vcc_lo, exec_lo, s8
	s_mov_b32 s8, 0
	s_cbranch_vccz .LBB22_1111
; %bb.1072:
	s_cmp_gt_i32 s2, 22
	s_mov_b32 s9, -1
	s_cbranch_scc0 .LBB22_1104
; %bb.1073:
	s_cmp_lt_i32 s2, 24
	s_cbranch_scc1 .LBB22_1093
; %bb.1074:
	s_cmp_gt_i32 s2, 24
	s_cbranch_scc0 .LBB22_1082
; %bb.1075:
	v_and_b32_e32 v0, 0x7fffffff, v1
	v_mov_b32_e32 v2, 0x80
	s_mov_b32 s9, exec_lo
	v_cmpx_gt_u32_e32 0x47800000, v0
	s_cbranch_execz .LBB22_1081
; %bb.1076:
	v_cmp_lt_u32_e32 vcc_lo, 0x37ffffff, v0
	s_mov_b32 s11, 0
                                        ; implicit-def: $vgpr0
	s_and_saveexec_b32 s12, vcc_lo
	s_xor_b32 s12, exec_lo, s12
	s_cbranch_execz .LBB22_1365
; %bb.1077:
	v_bfe_u32 v0, v1, 21, 1
	s_mov_b32 s11, exec_lo
	v_add3_u32 v0, v1, v0, 0x88fffff
	v_lshrrev_b32_e32 v0, 21, v0
	s_andn2_saveexec_b32 s12, s12
	s_cbranch_execnz .LBB22_1366
.LBB22_1078:
	s_or_b32 exec_lo, exec_lo, s12
	v_mov_b32_e32 v2, 0
	s_and_saveexec_b32 s12, s11
.LBB22_1079:
	v_lshrrev_b32_e32 v2, 24, v1
	v_and_or_b32 v2, 0x80, v2, v0
.LBB22_1080:
	s_or_b32 exec_lo, exec_lo, s12
.LBB22_1081:
	s_or_b32 exec_lo, exec_lo, s9
	s_mov_b32 s9, 0
	global_store_byte v[3:4], v2, off
.LBB22_1082:
	s_and_b32 vcc_lo, exec_lo, s9
	s_cbranch_vccz .LBB22_1092
; %bb.1083:
	v_and_b32_e32 v2, 0x7fffffff, v1
	s_mov_b32 s9, exec_lo
                                        ; implicit-def: $vgpr0
	v_cmpx_gt_u32_e32 0x43f00000, v2
	s_xor_b32 s9, exec_lo, s9
	s_cbranch_execz .LBB22_1089
; %bb.1084:
	s_mov_b32 s11, exec_lo
                                        ; implicit-def: $vgpr0
	v_cmpx_lt_u32_e32 0x3c7fffff, v2
	s_xor_b32 s11, exec_lo, s11
; %bb.1085:
	v_bfe_u32 v0, v1, 20, 1
	v_add3_u32 v0, v1, v0, 0x407ffff
	v_and_b32_e32 v2, 0xff00000, v0
	v_lshrrev_b32_e32 v0, 20, v0
	v_cmp_ne_u32_e32 vcc_lo, 0x7f00000, v2
	v_cndmask_b32_e32 v0, 0x7e, v0, vcc_lo
; %bb.1086:
	s_andn2_saveexec_b32 s11, s11
; %bb.1087:
	v_add_f32_e64 v0, 0x46800000, |v1|
; %bb.1088:
	s_or_b32 exec_lo, exec_lo, s11
                                        ; implicit-def: $vgpr2
.LBB22_1089:
	s_andn2_saveexec_b32 s9, s9
; %bb.1090:
	v_mov_b32_e32 v0, 0x7f
	v_cmp_lt_u32_e32 vcc_lo, 0x7f800000, v2
	v_cndmask_b32_e32 v0, 0x7e, v0, vcc_lo
; %bb.1091:
	s_or_b32 exec_lo, exec_lo, s9
	v_lshrrev_b32_e32 v2, 24, v1
	v_and_or_b32 v0, 0x80, v2, v0
	global_store_byte v[3:4], v0, off
.LBB22_1092:
	s_mov_b32 s9, 0
.LBB22_1093:
	s_andn2_b32 vcc_lo, exec_lo, s9
	s_cbranch_vccnz .LBB22_1103
; %bb.1094:
	v_and_b32_e32 v2, 0x7fffffff, v1
	s_mov_b32 s9, exec_lo
                                        ; implicit-def: $vgpr0
	v_cmpx_gt_u32_e32 0x47800000, v2
	s_xor_b32 s9, exec_lo, s9
	s_cbranch_execz .LBB22_1100
; %bb.1095:
	s_mov_b32 s11, exec_lo
                                        ; implicit-def: $vgpr0
	v_cmpx_lt_u32_e32 0x387fffff, v2
	s_xor_b32 s11, exec_lo, s11
; %bb.1096:
	v_bfe_u32 v0, v1, 21, 1
	v_add3_u32 v0, v1, v0, 0x80fffff
	v_lshrrev_b32_e32 v0, 21, v0
; %bb.1097:
	s_andn2_saveexec_b32 s11, s11
; %bb.1098:
	v_add_f32_e64 v0, 0x43000000, |v1|
; %bb.1099:
	s_or_b32 exec_lo, exec_lo, s11
                                        ; implicit-def: $vgpr2
.LBB22_1100:
	s_andn2_saveexec_b32 s9, s9
; %bb.1101:
	v_mov_b32_e32 v0, 0x7f
	v_cmp_lt_u32_e32 vcc_lo, 0x7f800000, v2
	v_cndmask_b32_e32 v0, 0x7c, v0, vcc_lo
; %bb.1102:
	s_or_b32 exec_lo, exec_lo, s9
	v_lshrrev_b32_e32 v2, 24, v1
	v_and_or_b32 v0, 0x80, v2, v0
	global_store_byte v[3:4], v0, off
.LBB22_1103:
	s_mov_b32 s9, 0
.LBB22_1104:
	s_andn2_b32 vcc_lo, exec_lo, s9
	s_mov_b32 s9, 0
	s_cbranch_vccnz .LBB22_1112
; %bb.1105:
	s_cmp_gt_i32 s2, 14
	s_mov_b32 s9, -1
	s_cbranch_scc0 .LBB22_1109
; %bb.1106:
	s_cmp_eq_u32 s2, 15
	s_mov_b32 s0, -1
	s_cbranch_scc0 .LBB22_1108
; %bb.1107:
	v_bfe_u32 v0, v1, 16, 1
	v_cmp_o_f32_e32 vcc_lo, v1, v1
	v_mov_b32_e32 v2, 0x7fc0
	s_mov_b32 s0, 0
	v_add3_u32 v0, v1, v0, 0x7fff
	v_cndmask_b32_sdwa v0, v2, v0, vcc_lo dst_sel:DWORD dst_unused:UNUSED_PAD src0_sel:DWORD src1_sel:WORD_1
	global_store_short v[3:4], v0, off
.LBB22_1108:
	s_mov_b32 s9, 0
.LBB22_1109:
	s_and_b32 vcc_lo, exec_lo, s9
	s_mov_b32 s9, 0
	s_cbranch_vccz .LBB22_1112
; %bb.1110:
	s_cmp_lg_u32 s2, 11
	s_mov_b32 s9, -1
	s_cselect_b32 s2, -1, 0
	s_andn2_b32 s0, s0, exec_lo
	s_and_b32 s2, s2, exec_lo
	s_or_b32 s0, s0, s2
	s_branch .LBB22_1112
.LBB22_1111:
	s_mov_b32 s9, 0
.LBB22_1112:
	s_and_b32 s2, s8, exec_lo
	s_andn2_b32 s8, s36, exec_lo
	s_and_b32 s0, s0, exec_lo
	s_and_b32 s11, s9, exec_lo
	s_or_b32 s36, s8, s0
	s_or_b32 exec_lo, exec_lo, s10
	s_and_saveexec_b32 s0, s36
	s_cbranch_execz .LBB22_1027
.LBB22_1113:
	s_or_b32 s3, s3, exec_lo
	s_andn2_b32 s11, s11, exec_lo
	s_trap 2
	s_or_b32 exec_lo, exec_lo, s0
	s_and_saveexec_b32 s0, s11
	s_xor_b32 s0, exec_lo, s0
	s_cbranch_execnz .LBB22_1028
.LBB22_1114:
	s_or_b32 exec_lo, exec_lo, s0
	s_and_saveexec_b32 s0, s2
	s_xor_b32 s0, exec_lo, s0
	s_cbranch_execz .LBB22_1152
.LBB22_1115:
	s_sext_i32_i16 s8, s1
	s_mov_b32 s2, -1
	s_cmp_lt_i32 s8, 5
	s_cbranch_scc1 .LBB22_1136
; %bb.1116:
	s_cmp_lt_i32 s8, 8
	s_cbranch_scc1 .LBB22_1126
; %bb.1117:
	;; [unrolled: 3-line block ×3, first 2 shown]
	s_cmp_gt_i32 s8, 9
	s_cbranch_scc0 .LBB22_1120
; %bb.1119:
	s_waitcnt vmcnt(0)
	v_cvt_f64_f32_e32 v[5:6], v1
	v_mov_b32_e32 v7, 0
	s_mov_b32 s2, 0
	v_mov_b32_e32 v8, v7
	global_store_dwordx4 v[3:4], v[5:8], off
.LBB22_1120:
	s_andn2_b32 vcc_lo, exec_lo, s2
	s_cbranch_vccnz .LBB22_1122
; %bb.1121:
	v_mov_b32_e32 v2, 0
	s_waitcnt vmcnt(0)
	global_store_dwordx2 v[3:4], v[1:2], off
.LBB22_1122:
	s_mov_b32 s2, 0
.LBB22_1123:
	s_andn2_b32 vcc_lo, exec_lo, s2
	s_cbranch_vccnz .LBB22_1125
; %bb.1124:
	v_cvt_f16_f32_e32 v0, v1
	v_and_b32_e32 v0, 0xffff, v0
	s_waitcnt vmcnt(0)
	global_store_dword v[3:4], v0, off
.LBB22_1125:
	s_mov_b32 s2, 0
.LBB22_1126:
	s_andn2_b32 vcc_lo, exec_lo, s2
	s_cbranch_vccnz .LBB22_1135
; %bb.1127:
	s_sext_i32_i16 s8, s1
	s_mov_b32 s2, -1
	s_cmp_lt_i32 s8, 6
	s_cbranch_scc1 .LBB22_1133
; %bb.1128:
	s_cmp_gt_i32 s8, 6
	s_cbranch_scc0 .LBB22_1130
; %bb.1129:
	s_waitcnt vmcnt(0)
	v_cvt_f64_f32_e32 v[5:6], v1
	s_mov_b32 s2, 0
	global_store_dwordx2 v[3:4], v[5:6], off
.LBB22_1130:
	s_andn2_b32 vcc_lo, exec_lo, s2
	s_cbranch_vccnz .LBB22_1132
; %bb.1131:
	s_waitcnt vmcnt(0)
	global_store_dword v[3:4], v1, off
.LBB22_1132:
	s_mov_b32 s2, 0
.LBB22_1133:
	s_andn2_b32 vcc_lo, exec_lo, s2
	s_cbranch_vccnz .LBB22_1135
; %bb.1134:
	v_cvt_f16_f32_e32 v0, v1
	s_waitcnt vmcnt(0)
	global_store_short v[3:4], v0, off
.LBB22_1135:
	s_mov_b32 s2, 0
.LBB22_1136:
	s_andn2_b32 vcc_lo, exec_lo, s2
	s_cbranch_vccnz .LBB22_1152
; %bb.1137:
	s_sext_i32_i16 s8, s1
	s_mov_b32 s2, -1
	s_cmp_lt_i32 s8, 2
	s_cbranch_scc1 .LBB22_1147
; %bb.1138:
	s_cmp_lt_i32 s8, 3
	s_cbranch_scc1 .LBB22_1144
; %bb.1139:
	s_cmp_gt_i32 s8, 3
	s_cbranch_scc0 .LBB22_1141
; %bb.1140:
	v_trunc_f32_e32 v0, v1
	s_mov_b32 s2, 0
	v_mul_f32_e64 v2, 0x2f800000, |v0|
	v_floor_f32_e32 v2, v2
	s_waitcnt vmcnt(0)
	v_fma_f32 v5, 0xcf800000, v2, |v0|
	v_ashrrev_i32_e32 v0, 31, v0
	v_cvt_u32_f32_e32 v2, v2
	v_cvt_u32_f32_e32 v5, v5
	v_xor_b32_e32 v2, v2, v0
	v_xor_b32_e32 v5, v5, v0
	v_sub_co_u32 v5, vcc_lo, v5, v0
	v_sub_co_ci_u32_e64 v6, null, v2, v0, vcc_lo
	global_store_dwordx2 v[3:4], v[5:6], off
.LBB22_1141:
	s_andn2_b32 vcc_lo, exec_lo, s2
	s_cbranch_vccnz .LBB22_1143
; %bb.1142:
	v_cvt_i32_f32_e32 v0, v1
	s_waitcnt vmcnt(0)
	global_store_dword v[3:4], v0, off
.LBB22_1143:
	s_mov_b32 s2, 0
.LBB22_1144:
	s_andn2_b32 vcc_lo, exec_lo, s2
	s_cbranch_vccnz .LBB22_1146
; %bb.1145:
	v_cvt_i32_f32_e32 v0, v1
	s_waitcnt vmcnt(0)
	global_store_short v[3:4], v0, off
.LBB22_1146:
	s_mov_b32 s2, 0
.LBB22_1147:
	s_andn2_b32 vcc_lo, exec_lo, s2
	s_cbranch_vccnz .LBB22_1152
; %bb.1148:
	s_sext_i32_i16 s1, s1
	s_cmp_gt_i32 s1, 0
	s_mov_b32 s1, -1
	s_cbranch_scc0 .LBB22_1150
; %bb.1149:
	v_cvt_i32_f32_e32 v0, v1
	s_mov_b32 s1, 0
	s_waitcnt vmcnt(0)
	global_store_byte v[3:4], v0, off
.LBB22_1150:
	s_andn2_b32 vcc_lo, exec_lo, s1
	s_cbranch_vccnz .LBB22_1152
; %bb.1151:
	v_trunc_f32_e32 v0, v1
	v_mul_f32_e64 v1, 0x2f800000, |v0|
	v_floor_f32_e32 v1, v1
	v_fma_f32 v1, 0xcf800000, v1, |v0|
	v_ashrrev_i32_e32 v0, 31, v0
	v_cvt_u32_f32_e32 v1, v1
	v_xor_b32_e32 v1, v1, v0
	v_sub_nc_u32_e32 v0, v1, v0
	s_waitcnt vmcnt(0)
	global_store_byte v[3:4], v0, off
.LBB22_1152:
	s_or_b32 exec_lo, exec_lo, s0
	s_and_b32 s12, s3, exec_lo
                                        ; implicit-def: $vgpr15
                                        ; implicit-def: $vgpr8
.LBB22_1153:
	s_or_saveexec_b32 s13, s28
	s_mov_b32 s0, 0
                                        ; implicit-def: $vgpr0_vgpr1
                                        ; implicit-def: $sgpr1
                                        ; implicit-def: $vgpr7
	s_xor_b32 exec_lo, exec_lo, s13
	s_cbranch_execz .LBB22_1785
; %bb.1154:
	v_cndmask_b32_e64 v0, 0, 1, s27
	s_andn2_b32 vcc_lo, exec_lo, s27
	s_cbranch_vccnz .LBB22_1160
; %bb.1155:
	s_cmp_lg_u32 s24, 0
	s_mov_b32 s8, 0
	s_cbranch_scc0 .LBB22_1161
; %bb.1156:
	s_min_u32 s10, s25, 15
	s_add_i32 s10, s10, 1
	s_cmp_eq_u32 s25, 2
	s_cbranch_scc1 .LBB22_1162
; %bb.1157:
	v_mov_b32_e32 v13, 0
	v_mov_b32_e32 v6, 0
	;; [unrolled: 1-line block ×3, first 2 shown]
	s_and_b32 s9, s10, 28
	s_add_u32 s0, s6, 0xc4
	s_addc_u32 s1, s7, 0
	s_mov_b32 s11, 0
	s_mov_b64 s[2:3], s[6:7]
.LBB22_1158:                            ; =>This Inner Loop Header: Depth=1
	s_clause 0x1
	s_load_dwordx8 s[16:23], s[2:3], 0x4
	s_load_dwordx4 s[28:31], s[2:3], 0x24
	s_load_dwordx8 s[36:43], s[0:1], 0x0
	s_add_u32 s2, s2, 48
	s_addc_u32 s3, s3, 0
	s_add_i32 s11, s11, 4
	s_add_u32 s0, s0, 32
	s_addc_u32 s1, s1, 0
	s_cmp_lg_u32 s9, s11
	s_waitcnt lgkmcnt(0)
	v_mul_hi_u32 v2, s17, v1
	v_add_nc_u32_e32 v2, v1, v2
	v_lshrrev_b32_e32 v2, s18, v2
	s_waitcnt vmcnt(0)
	v_mul_hi_u32 v3, s20, v2
	v_mul_lo_u32 v5, v2, s16
	v_add_nc_u32_e32 v3, v2, v3
	v_sub_nc_u32_e32 v1, v1, v5
	v_lshrrev_b32_e32 v3, s21, v3
	v_mul_lo_u32 v5, v1, s36
	v_mul_lo_u32 v9, v1, s37
	v_mul_hi_u32 v4, s23, v3
	v_add_nc_u32_e32 v4, v3, v4
	v_lshrrev_b32_e32 v4, s28, v4
	v_mul_hi_u32 v7, s30, v4
	v_mul_lo_u32 v10, v4, s22
	v_add_nc_u32_e32 v1, v4, v7
	v_mul_lo_u32 v7, v3, s19
	v_sub_nc_u32_e32 v3, v3, v10
	v_lshrrev_b32_e32 v1, s31, v1
	v_mul_lo_u32 v10, v3, s40
	v_mul_lo_u32 v3, v3, s41
	v_sub_nc_u32_e32 v2, v2, v7
	v_mul_lo_u32 v11, v1, s29
	v_mul_lo_u32 v7, v2, s38
	;; [unrolled: 1-line block ×3, first 2 shown]
	v_sub_nc_u32_e32 v4, v4, v11
	v_add3_u32 v5, v5, v6, v7
	v_mul_lo_u32 v11, v4, s42
	v_mul_lo_u32 v4, v4, s43
	v_add3_u32 v2, v9, v13, v2
	v_add3_u32 v6, v10, v5, v11
	;; [unrolled: 1-line block ×3, first 2 shown]
	s_cbranch_scc1 .LBB22_1158
; %bb.1159:
	s_and_b32 s10, s10, 3
	s_cmp_eq_u32 s10, 0
	s_cbranch_scc0 .LBB22_1163
	s_branch .LBB22_1165
.LBB22_1160:
	s_mov_b32 s8, -1
                                        ; implicit-def: $vgpr6
                                        ; implicit-def: $vgpr13
	s_branch .LBB22_1165
.LBB22_1161:
	v_mov_b32_e32 v6, 0
	v_mov_b32_e32 v13, 0
	s_branch .LBB22_1165
.LBB22_1162:
	v_mov_b32_e32 v6, 0
	v_mov_b32_e32 v13, 0
	;; [unrolled: 1-line block ×3, first 2 shown]
	s_mov_b32 s9, 0
	s_and_b32 s10, s10, 3
	s_cmp_eq_u32 s10, 0
	s_cbranch_scc1 .LBB22_1165
.LBB22_1163:
	s_lshl_b32 s0, s9, 3
	s_mul_i32 s2, s9, 12
	s_add_u32 s0, s6, s0
	s_addc_u32 s1, s7, 0
	s_add_u32 s0, s0, 0xc4
	s_addc_u32 s1, s1, 0
	;; [unrolled: 2-line block ×3, first 2 shown]
	.p2align	6
.LBB22_1164:                            ; =>This Inner Loop Header: Depth=1
	s_clause 0x1
	s_load_dwordx2 s[14:15], s[2:3], 0x4
	s_load_dword s9, s[2:3], 0xc
	s_load_dwordx2 s[16:17], s[0:1], 0x0
	s_add_u32 s2, s2, 12
	s_addc_u32 s3, s3, 0
	s_add_u32 s0, s0, 8
	s_addc_u32 s1, s1, 0
	s_add_i32 s10, s10, -1
	s_cmp_lg_u32 s10, 0
	s_waitcnt lgkmcnt(0)
	v_mul_hi_u32 v2, s15, v1
	v_add_nc_u32_e32 v2, v1, v2
	v_lshrrev_b32_e32 v2, s9, v2
	s_waitcnt vmcnt(0)
	v_mul_lo_u32 v3, v2, s14
	v_sub_nc_u32_e32 v1, v1, v3
	v_mad_u64_u32 v[6:7], null, v1, s16, v[6:7]
	v_mad_u64_u32 v[13:14], null, v1, s17, v[13:14]
	v_mov_b32_e32 v1, v2
	s_cbranch_scc1 .LBB22_1164
.LBB22_1165:
	s_andn2_b32 vcc_lo, exec_lo, s8
	s_cbranch_vccnz .LBB22_1168
; %bb.1166:
	s_clause 0x1
	s_load_dwordx4 s[0:3], s[6:7], 0x4
	s_load_dwordx2 s[8:9], s[6:7], 0xc4
	s_cmp_lt_u32 s24, 2
	s_waitcnt lgkmcnt(0)
	v_mul_hi_u32 v1, s1, v8
	v_add_nc_u32_e32 v1, v8, v1
	v_lshrrev_b32_e32 v1, s2, v1
	v_mul_lo_u32 v2, v1, s0
	v_sub_nc_u32_e32 v2, v8, v2
	v_mul_lo_u32 v6, v2, s8
	v_mul_lo_u32 v13, v2, s9
	s_cbranch_scc1 .LBB22_1168
; %bb.1167:
	s_clause 0x1
	s_load_dwordx4 s[0:3], s[6:7], 0x10
	s_load_dwordx2 s[8:9], s[6:7], 0xcc
	s_waitcnt lgkmcnt(0)
	v_mul_hi_u32 v2, s1, v1
	v_add_nc_u32_e32 v2, v1, v2
	v_lshrrev_b32_e32 v2, s2, v2
	v_mul_lo_u32 v2, v2, s0
	v_sub_nc_u32_e32 v1, v1, v2
	v_mad_u64_u32 v[6:7], null, v1, s8, v[6:7]
	v_mad_u64_u32 v[13:14], null, v1, s9, v[13:14]
.LBB22_1168:
	v_cmp_ne_u32_e32 vcc_lo, 1, v0
	v_add_nc_u32_e32 v1, 0x80, v8
	s_cbranch_vccnz .LBB22_1174
; %bb.1169:
	s_cmp_lg_u32 s24, 0
	s_mov_b32 s8, 0
	s_cbranch_scc0 .LBB22_1175
; %bb.1170:
	s_min_u32 s10, s25, 15
	s_add_i32 s10, s10, 1
	s_cmp_eq_u32 s25, 2
	s_cbranch_scc1 .LBB22_1176
; %bb.1171:
	v_mov_b32_e32 v11, 0
	v_mov_b32_e32 v4, 0
	;; [unrolled: 1-line block ×3, first 2 shown]
	s_and_b32 s9, s10, 28
	s_add_u32 s0, s6, 0xc4
	s_addc_u32 s1, s7, 0
	s_mov_b32 s11, 0
	s_mov_b64 s[2:3], s[6:7]
.LBB22_1172:                            ; =>This Inner Loop Header: Depth=1
	s_clause 0x1
	s_load_dwordx8 s[16:23], s[2:3], 0x4
	s_load_dwordx4 s[28:31], s[2:3], 0x24
	s_load_dwordx8 s[36:43], s[0:1], 0x0
	s_add_u32 s2, s2, 48
	s_addc_u32 s3, s3, 0
	s_add_i32 s11, s11, 4
	s_add_u32 s0, s0, 32
	s_addc_u32 s1, s1, 0
	s_cmp_lg_u32 s9, s11
	s_waitcnt vmcnt(0) lgkmcnt(0)
	v_mul_hi_u32 v3, s17, v2
	v_add_nc_u32_e32 v3, v2, v3
	v_lshrrev_b32_e32 v3, s18, v3
	v_mul_hi_u32 v5, s20, v3
	v_mul_lo_u32 v9, v3, s16
	v_add_nc_u32_e32 v5, v3, v5
	v_sub_nc_u32_e32 v2, v2, v9
	v_lshrrev_b32_e32 v5, s21, v5
	v_mul_lo_u32 v9, v2, s36
	v_mul_lo_u32 v12, v2, s37
	v_mul_hi_u32 v7, s23, v5
	v_add_nc_u32_e32 v7, v5, v7
	v_lshrrev_b32_e32 v7, s28, v7
	v_mul_hi_u32 v10, s30, v7
	v_mul_lo_u32 v14, v7, s22
	v_add_nc_u32_e32 v2, v7, v10
	v_mul_lo_u32 v10, v5, s19
	v_sub_nc_u32_e32 v5, v5, v14
	v_lshrrev_b32_e32 v2, s31, v2
	v_mul_lo_u32 v14, v5, s40
	v_mul_lo_u32 v5, v5, s41
	v_sub_nc_u32_e32 v3, v3, v10
	v_mul_lo_u32 v16, v2, s29
	v_mul_lo_u32 v10, v3, s38
	;; [unrolled: 1-line block ×3, first 2 shown]
	v_sub_nc_u32_e32 v7, v7, v16
	v_add3_u32 v4, v9, v4, v10
	v_mul_lo_u32 v16, v7, s42
	v_mul_lo_u32 v7, v7, s43
	v_add3_u32 v3, v12, v11, v3
	v_add3_u32 v4, v14, v4, v16
	;; [unrolled: 1-line block ×3, first 2 shown]
	s_cbranch_scc1 .LBB22_1172
; %bb.1173:
	s_and_b32 s10, s10, 3
	s_cmp_eq_u32 s10, 0
	s_cbranch_scc0 .LBB22_1177
	s_branch .LBB22_1179
.LBB22_1174:
	s_mov_b32 s8, -1
                                        ; implicit-def: $vgpr4
                                        ; implicit-def: $vgpr11
	s_branch .LBB22_1179
.LBB22_1175:
	v_mov_b32_e32 v4, 0
	v_mov_b32_e32 v11, 0
	s_branch .LBB22_1179
.LBB22_1176:
	v_mov_b32_e32 v4, 0
	v_mov_b32_e32 v11, 0
	;; [unrolled: 1-line block ×3, first 2 shown]
	s_mov_b32 s9, 0
	s_and_b32 s10, s10, 3
	s_cmp_eq_u32 s10, 0
	s_cbranch_scc1 .LBB22_1179
.LBB22_1177:
	s_lshl_b32 s0, s9, 3
	s_mul_i32 s2, s9, 12
	s_add_u32 s0, s6, s0
	s_addc_u32 s1, s7, 0
	s_add_u32 s0, s0, 0xc4
	s_addc_u32 s1, s1, 0
	;; [unrolled: 2-line block ×3, first 2 shown]
	.p2align	6
.LBB22_1178:                            ; =>This Inner Loop Header: Depth=1
	s_clause 0x1
	s_load_dwordx2 s[14:15], s[2:3], 0x4
	s_load_dword s9, s[2:3], 0xc
	s_load_dwordx2 s[16:17], s[0:1], 0x0
	s_add_u32 s2, s2, 12
	s_addc_u32 s3, s3, 0
	s_add_u32 s0, s0, 8
	s_addc_u32 s1, s1, 0
	s_add_i32 s10, s10, -1
	s_cmp_lg_u32 s10, 0
	s_waitcnt vmcnt(0) lgkmcnt(0)
	v_mul_hi_u32 v3, s15, v2
	v_add_nc_u32_e32 v3, v2, v3
	v_lshrrev_b32_e32 v3, s9, v3
	v_mul_lo_u32 v5, v3, s14
	v_sub_nc_u32_e32 v2, v2, v5
	v_mad_u64_u32 v[4:5], null, v2, s16, v[4:5]
	v_mad_u64_u32 v[11:12], null, v2, s17, v[11:12]
	v_mov_b32_e32 v2, v3
	s_cbranch_scc1 .LBB22_1178
.LBB22_1179:
	s_andn2_b32 vcc_lo, exec_lo, s8
	s_cbranch_vccnz .LBB22_1182
; %bb.1180:
	s_clause 0x1
	s_load_dwordx4 s[0:3], s[6:7], 0x4
	s_load_dwordx2 s[8:9], s[6:7], 0xc4
	s_cmp_lt_u32 s24, 2
	s_waitcnt lgkmcnt(0)
	v_mul_hi_u32 v2, s1, v1
	v_add_nc_u32_e32 v2, v1, v2
	v_lshrrev_b32_e32 v2, s2, v2
	s_waitcnt vmcnt(0)
	v_mul_lo_u32 v3, v2, s0
	v_sub_nc_u32_e32 v1, v1, v3
	v_mul_lo_u32 v4, v1, s8
	v_mul_lo_u32 v11, v1, s9
	s_cbranch_scc1 .LBB22_1182
; %bb.1181:
	s_clause 0x1
	s_load_dwordx4 s[0:3], s[6:7], 0x10
	s_load_dwordx2 s[8:9], s[6:7], 0xcc
	s_waitcnt lgkmcnt(0)
	v_mul_hi_u32 v1, s1, v2
	v_add_nc_u32_e32 v1, v2, v1
	v_lshrrev_b32_e32 v1, s2, v1
	v_mul_lo_u32 v1, v1, s0
	v_sub_nc_u32_e32 v1, v2, v1
	v_mad_u64_u32 v[4:5], null, v1, s8, v[4:5]
	v_mad_u64_u32 v[11:12], null, v1, s9, v[11:12]
.LBB22_1182:
	v_cmp_ne_u32_e32 vcc_lo, 1, v0
	v_add_nc_u32_e32 v1, 0x100, v8
	s_cbranch_vccnz .LBB22_1188
; %bb.1183:
	s_cmp_lg_u32 s24, 0
	s_mov_b32 s8, 0
	s_cbranch_scc0 .LBB22_1189
; %bb.1184:
	s_min_u32 s10, s25, 15
	s_add_i32 s10, s10, 1
	s_cmp_eq_u32 s25, 2
	s_cbranch_scc1 .LBB22_1190
; %bb.1185:
	v_mov_b32_e32 v9, 0
	v_mov_b32_e32 v2, 0
	s_waitcnt vmcnt(0)
	v_mov_b32_e32 v3, v1
	s_and_b32 s9, s10, 28
	s_add_u32 s0, s6, 0xc4
	s_addc_u32 s1, s7, 0
	s_mov_b32 s11, 0
	s_mov_b64 s[2:3], s[6:7]
.LBB22_1186:                            ; =>This Inner Loop Header: Depth=1
	s_clause 0x1
	s_load_dwordx8 s[16:23], s[2:3], 0x4
	s_load_dwordx4 s[28:31], s[2:3], 0x24
	s_load_dwordx8 s[36:43], s[0:1], 0x0
	s_add_u32 s2, s2, 48
	s_addc_u32 s3, s3, 0
	s_add_i32 s11, s11, 4
	s_add_u32 s0, s0, 32
	s_addc_u32 s1, s1, 0
	s_cmp_lg_u32 s9, s11
	s_waitcnt lgkmcnt(0)
	v_mul_hi_u32 v5, s17, v3
	v_add_nc_u32_e32 v5, v3, v5
	v_lshrrev_b32_e32 v5, s18, v5
	v_mul_hi_u32 v7, s20, v5
	v_mul_lo_u32 v10, v5, s16
	v_add_nc_u32_e32 v7, v5, v7
	v_sub_nc_u32_e32 v3, v3, v10
	v_lshrrev_b32_e32 v7, s21, v7
	v_mul_lo_u32 v10, v3, s36
	v_mul_lo_u32 v14, v3, s37
	v_mul_hi_u32 v8, s23, v7
	v_add_nc_u32_e32 v8, v7, v8
	v_lshrrev_b32_e32 v8, s28, v8
	v_mul_hi_u32 v12, s30, v8
	v_mul_lo_u32 v16, v8, s22
	v_add_nc_u32_e32 v3, v8, v12
	v_mul_lo_u32 v12, v7, s19
	v_sub_nc_u32_e32 v7, v7, v16
	v_lshrrev_b32_e32 v3, s31, v3
	v_mul_lo_u32 v16, v7, s40
	v_mul_lo_u32 v7, v7, s41
	v_sub_nc_u32_e32 v5, v5, v12
	v_mul_lo_u32 v17, v3, s29
	v_mul_lo_u32 v12, v5, s38
	;; [unrolled: 1-line block ×3, first 2 shown]
	v_sub_nc_u32_e32 v8, v8, v17
	v_add3_u32 v2, v10, v2, v12
	v_mul_lo_u32 v17, v8, s42
	v_mul_lo_u32 v8, v8, s43
	v_add3_u32 v5, v14, v9, v5
	v_add3_u32 v2, v16, v2, v17
	;; [unrolled: 1-line block ×3, first 2 shown]
	s_cbranch_scc1 .LBB22_1186
; %bb.1187:
	s_and_b32 s10, s10, 3
	s_cmp_eq_u32 s10, 0
	s_cbranch_scc0 .LBB22_1191
	s_branch .LBB22_1193
.LBB22_1188:
	s_mov_b32 s8, -1
                                        ; implicit-def: $vgpr2
                                        ; implicit-def: $vgpr9
	s_branch .LBB22_1193
.LBB22_1189:
	v_mov_b32_e32 v2, 0
	v_mov_b32_e32 v9, 0
	s_branch .LBB22_1193
.LBB22_1190:
	v_mov_b32_e32 v2, 0
	v_mov_b32_e32 v9, 0
	s_waitcnt vmcnt(0)
	v_mov_b32_e32 v3, v1
	s_mov_b32 s9, 0
	s_and_b32 s10, s10, 3
	s_cmp_eq_u32 s10, 0
	s_cbranch_scc1 .LBB22_1193
.LBB22_1191:
	s_lshl_b32 s0, s9, 3
	s_mul_i32 s2, s9, 12
	s_add_u32 s0, s6, s0
	s_addc_u32 s1, s7, 0
	s_add_u32 s0, s0, 0xc4
	s_addc_u32 s1, s1, 0
	;; [unrolled: 2-line block ×3, first 2 shown]
	.p2align	6
.LBB22_1192:                            ; =>This Inner Loop Header: Depth=1
	s_clause 0x1
	s_load_dwordx2 s[14:15], s[2:3], 0x4
	s_load_dword s9, s[2:3], 0xc
	s_load_dwordx2 s[16:17], s[0:1], 0x0
	s_add_u32 s2, s2, 12
	s_addc_u32 s3, s3, 0
	s_add_u32 s0, s0, 8
	s_addc_u32 s1, s1, 0
	s_add_i32 s10, s10, -1
	s_cmp_lg_u32 s10, 0
	s_waitcnt lgkmcnt(0)
	v_mul_hi_u32 v5, s15, v3
	v_add_nc_u32_e32 v5, v3, v5
	v_lshrrev_b32_e32 v5, s9, v5
	v_mul_lo_u32 v7, v5, s14
	v_sub_nc_u32_e32 v7, v3, v7
	v_mad_u64_u32 v[2:3], null, v7, s16, v[2:3]
	v_mad_u64_u32 v[9:10], null, v7, s17, v[9:10]
	v_mov_b32_e32 v3, v5
	s_cbranch_scc1 .LBB22_1192
.LBB22_1193:
	s_andn2_b32 vcc_lo, exec_lo, s8
	s_cbranch_vccnz .LBB22_1196
; %bb.1194:
	s_clause 0x1
	s_load_dwordx4 s[0:3], s[6:7], 0x4
	s_load_dwordx2 s[8:9], s[6:7], 0xc4
	s_cmp_lt_u32 s24, 2
	s_waitcnt lgkmcnt(0)
	v_mul_hi_u32 v2, s1, v1
	v_add_nc_u32_e32 v2, v1, v2
	s_waitcnt vmcnt(0)
	v_lshrrev_b32_e32 v3, s2, v2
	v_mul_lo_u32 v2, v3, s0
	v_sub_nc_u32_e32 v1, v1, v2
	v_mul_lo_u32 v2, v1, s8
	v_mul_lo_u32 v9, v1, s9
	s_cbranch_scc1 .LBB22_1196
; %bb.1195:
	s_clause 0x1
	s_load_dwordx4 s[0:3], s[6:7], 0x10
	s_load_dwordx2 s[8:9], s[6:7], 0xcc
	s_waitcnt lgkmcnt(0)
	v_mul_hi_u32 v1, s1, v3
	v_add_nc_u32_e32 v1, v3, v1
	v_lshrrev_b32_e32 v1, s2, v1
	v_mul_lo_u32 v1, v1, s0
	v_sub_nc_u32_e32 v1, v3, v1
	v_mad_u64_u32 v[2:3], null, v1, s8, v[2:3]
	v_mad_u64_u32 v[9:10], null, v1, s9, v[9:10]
.LBB22_1196:
	v_cmp_ne_u32_e32 vcc_lo, 1, v0
	s_cbranch_vccnz .LBB22_1202
; %bb.1197:
	s_cmp_lg_u32 s24, 0
	s_mov_b32 s8, 0
	s_cbranch_scc0 .LBB22_1203
; %bb.1198:
	s_min_u32 s10, s25, 15
	s_add_i32 s10, s10, 1
	s_cmp_eq_u32 s25, 2
	s_cbranch_scc1 .LBB22_1204
; %bb.1199:
	v_mov_b32_e32 v7, 0
	v_mov_b32_e32 v0, 0
	v_mov_b32_e32 v1, v15
	s_and_b32 s9, s10, 28
	s_add_u32 s0, s6, 0xc4
	s_addc_u32 s1, s7, 0
	s_mov_b32 s11, 0
	s_mov_b64 s[2:3], s[6:7]
.LBB22_1200:                            ; =>This Inner Loop Header: Depth=1
	s_clause 0x1
	s_load_dwordx8 s[16:23], s[2:3], 0x4
	s_load_dwordx4 s[28:31], s[2:3], 0x24
	s_load_dwordx8 s[36:43], s[0:1], 0x0
	s_add_u32 s2, s2, 48
	s_addc_u32 s3, s3, 0
	s_add_i32 s11, s11, 4
	s_add_u32 s0, s0, 32
	s_addc_u32 s1, s1, 0
	s_cmp_lg_u32 s9, s11
	s_waitcnt vmcnt(0) lgkmcnt(0)
	v_mul_hi_u32 v3, s17, v1
	v_add_nc_u32_e32 v3, v1, v3
	v_lshrrev_b32_e32 v3, s18, v3
	v_mul_hi_u32 v5, s20, v3
	v_mul_lo_u32 v10, v3, s16
	v_add_nc_u32_e32 v5, v3, v5
	v_sub_nc_u32_e32 v1, v1, v10
	v_lshrrev_b32_e32 v5, s21, v5
	v_mul_lo_u32 v10, v1, s36
	v_mul_lo_u32 v14, v1, s37
	v_mul_hi_u32 v8, s23, v5
	v_add_nc_u32_e32 v8, v5, v8
	v_lshrrev_b32_e32 v8, s28, v8
	v_mul_hi_u32 v12, s30, v8
	v_mul_lo_u32 v16, v8, s22
	v_add_nc_u32_e32 v1, v8, v12
	v_mul_lo_u32 v12, v5, s19
	v_sub_nc_u32_e32 v5, v5, v16
	v_lshrrev_b32_e32 v1, s31, v1
	v_mul_lo_u32 v16, v5, s40
	v_mul_lo_u32 v5, v5, s41
	v_sub_nc_u32_e32 v3, v3, v12
	v_mul_lo_u32 v17, v1, s29
	v_mul_lo_u32 v12, v3, s38
	;; [unrolled: 1-line block ×3, first 2 shown]
	v_sub_nc_u32_e32 v8, v8, v17
	v_add3_u32 v0, v10, v0, v12
	v_mul_lo_u32 v17, v8, s42
	v_mul_lo_u32 v8, v8, s43
	v_add3_u32 v3, v14, v7, v3
	v_add3_u32 v0, v16, v0, v17
	;; [unrolled: 1-line block ×3, first 2 shown]
	s_cbranch_scc1 .LBB22_1200
; %bb.1201:
	s_and_b32 s10, s10, 3
	s_cmp_eq_u32 s10, 0
	s_cbranch_scc0 .LBB22_1205
	s_branch .LBB22_1207
.LBB22_1202:
	s_mov_b32 s8, -1
                                        ; implicit-def: $vgpr0
                                        ; implicit-def: $vgpr7
	s_branch .LBB22_1207
.LBB22_1203:
	v_mov_b32_e32 v0, 0
	v_mov_b32_e32 v7, 0
	s_branch .LBB22_1207
.LBB22_1204:
	v_mov_b32_e32 v0, 0
	v_mov_b32_e32 v7, 0
	;; [unrolled: 1-line block ×3, first 2 shown]
	s_mov_b32 s9, 0
	s_and_b32 s10, s10, 3
	s_cmp_eq_u32 s10, 0
	s_cbranch_scc1 .LBB22_1207
.LBB22_1205:
	s_lshl_b32 s0, s9, 3
	s_mul_i32 s2, s9, 12
	s_add_u32 s0, s6, s0
	s_addc_u32 s1, s7, 0
	s_add_u32 s0, s0, 0xc4
	s_addc_u32 s1, s1, 0
	;; [unrolled: 2-line block ×3, first 2 shown]
	.p2align	6
.LBB22_1206:                            ; =>This Inner Loop Header: Depth=1
	s_clause 0x1
	s_load_dwordx2 s[14:15], s[2:3], 0x4
	s_load_dword s9, s[2:3], 0xc
	s_load_dwordx2 s[16:17], s[0:1], 0x0
	s_add_u32 s2, s2, 12
	s_addc_u32 s3, s3, 0
	s_add_u32 s0, s0, 8
	s_addc_u32 s1, s1, 0
	s_add_i32 s10, s10, -1
	s_cmp_lg_u32 s10, 0
	s_waitcnt vmcnt(0) lgkmcnt(0)
	v_mul_hi_u32 v3, s15, v1
	v_add_nc_u32_e32 v3, v1, v3
	v_lshrrev_b32_e32 v3, s9, v3
	v_mul_lo_u32 v5, v3, s14
	v_sub_nc_u32_e32 v5, v1, v5
	v_mad_u64_u32 v[0:1], null, v5, s16, v[0:1]
	v_mad_u64_u32 v[7:8], null, v5, s17, v[7:8]
	v_mov_b32_e32 v1, v3
	s_cbranch_scc1 .LBB22_1206
.LBB22_1207:
	s_andn2_b32 vcc_lo, exec_lo, s8
	s_cbranch_vccnz .LBB22_1210
; %bb.1208:
	s_clause 0x1
	s_load_dwordx4 s[0:3], s[6:7], 0x4
	s_load_dwordx2 s[8:9], s[6:7], 0xc4
	s_cmp_lt_u32 s24, 2
	s_waitcnt lgkmcnt(0)
	v_mul_hi_u32 v0, s1, v15
	v_add_nc_u32_e32 v0, v15, v0
	v_lshrrev_b32_e32 v1, s2, v0
	v_mul_lo_u32 v0, v1, s0
	s_waitcnt vmcnt(0)
	v_sub_nc_u32_e32 v3, v15, v0
	v_mul_lo_u32 v0, v3, s8
	v_mul_lo_u32 v7, v3, s9
	s_cbranch_scc1 .LBB22_1210
; %bb.1209:
	s_clause 0x1
	s_load_dwordx4 s[0:3], s[6:7], 0x10
	s_load_dwordx2 s[8:9], s[6:7], 0xcc
	s_waitcnt lgkmcnt(0)
	v_mul_hi_u32 v3, s1, v1
	v_add_nc_u32_e32 v3, v1, v3
	v_lshrrev_b32_e32 v3, s2, v3
	v_mul_lo_u32 v3, v3, s0
	v_sub_nc_u32_e32 v3, v1, v3
	v_mad_u64_u32 v[0:1], null, v3, s8, v[0:1]
	v_mad_u64_u32 v[7:8], null, v3, s9, v[7:8]
.LBB22_1210:
	s_clause 0x1
	s_load_dwordx4 s[8:11], s[6:7], 0x148
	s_load_dword s4, s[4:5], 0x160
	s_waitcnt lgkmcnt(0)
	v_add_co_u32 v12, s0, s10, v13
	v_add_co_ci_u32_e64 v13, null, s11, 0, s0
	s_bfe_u32 s0, s4, 0x80010
	s_cmp_lt_i32 s0, 11
	s_cbranch_scc1 .LBB22_1217
; %bb.1211:
	s_and_b32 s1, 0xffff, s0
	s_mov_b32 s5, 0
	s_cmp_gt_i32 s1, 25
	s_cbranch_scc0 .LBB22_1219
; %bb.1212:
	s_cmp_gt_i32 s1, 28
	s_cbranch_scc0 .LBB22_1220
; %bb.1213:
	s_cmp_gt_i32 s1, 43
	s_cbranch_scc0 .LBB22_1221
; %bb.1214:
	s_cmp_gt_i32 s1, 45
	s_cbranch_scc0 .LBB22_1222
; %bb.1215:
	s_cmp_eq_u32 s1, 46
	s_mov_b32 s3, 0
	s_cbranch_scc0 .LBB22_1225
; %bb.1216:
	global_load_dword v1, v[12:13], off
	s_mov_b32 s2, 0
	s_mov_b32 s6, -1
	s_waitcnt vmcnt(0)
	v_lshlrev_b32_e32 v1, 16, v1
	s_branch .LBB22_1227
.LBB22_1217:
	s_mov_b32 s6, 0
	s_mov_b32 s3, s12
                                        ; implicit-def: $vgpr1
	s_cbranch_execnz .LBB22_1290
.LBB22_1218:
	s_andn2_b32 vcc_lo, exec_lo, s6
	s_cbranch_vccz .LBB22_1335
	s_branch .LBB22_1783
.LBB22_1219:
	s_mov_b32 s6, 0
	s_mov_b32 s2, 0
                                        ; implicit-def: $vgpr1
	s_cbranch_execnz .LBB22_1255
	s_branch .LBB22_1286
.LBB22_1220:
	s_mov_b32 s3, -1
	s_mov_b32 s6, 0
	s_mov_b32 s2, 0
                                        ; implicit-def: $vgpr1
	s_branch .LBB22_1236
.LBB22_1221:
	s_mov_b32 s6, 0
	s_mov_b32 s2, 0
                                        ; implicit-def: $vgpr1
	s_cbranch_execnz .LBB22_1232
	s_branch .LBB22_1235
.LBB22_1222:
	s_mov_b32 s3, -1
	s_mov_b32 s6, 0
	s_mov_b32 s2, 0
	s_branch .LBB22_1226
.LBB22_1223:
	s_andn2_saveexec_b32 s11, s11
	s_cbranch_execz .LBB22_1066
.LBB22_1224:
	v_add_f32_e64 v0, 0x46000000, |v1|
	s_andn2_b32 s9, s9, exec_lo
	v_and_b32_e32 v0, 0xff, v0
	v_cmp_ne_u32_e32 vcc_lo, 0, v0
	s_and_b32 s12, vcc_lo, exec_lo
	s_or_b32 s9, s9, s12
	s_or_b32 exec_lo, exec_lo, s11
	v_mov_b32_e32 v2, 0
	s_and_saveexec_b32 s11, s9
	s_cbranch_execnz .LBB22_1067
	s_branch .LBB22_1068
.LBB22_1225:
	s_mov_b32 s2, -1
	s_mov_b32 s6, 0
.LBB22_1226:
                                        ; implicit-def: $vgpr1
.LBB22_1227:
	s_and_b32 vcc_lo, exec_lo, s3
	s_cbranch_vccz .LBB22_1230
; %bb.1228:
	s_cmp_eq_u32 s1, 44
	s_cbranch_scc0 .LBB22_1231
; %bb.1229:
	global_load_ubyte v1, v[12:13], off
	s_mov_b32 s2, 0
	s_mov_b32 s6, -1
	s_waitcnt vmcnt(0)
	v_lshlrev_b32_e32 v3, 23, v1
	v_cmp_ne_u32_e32 vcc_lo, 0xff, v1
	v_cndmask_b32_e32 v3, 0x7f800001, v3, vcc_lo
	v_cmp_ne_u32_e32 vcc_lo, 0, v1
	v_cndmask_b32_e32 v1, 0x400000, v3, vcc_lo
.LBB22_1230:
	s_branch .LBB22_1235
.LBB22_1231:
	s_mov_b32 s2, -1
                                        ; implicit-def: $vgpr1
	s_branch .LBB22_1235
.LBB22_1232:
	s_cmp_eq_u32 s1, 29
	s_cbranch_scc0 .LBB22_1234
; %bb.1233:
	global_load_dwordx2 v[14:15], v[12:13], off
	s_mov_b32 s2, 0
	s_mov_b32 s6, -1
	s_mov_b32 s3, 0
	s_waitcnt vmcnt(0)
	v_ffbh_u32_e32 v1, v15
	v_min_u32_e32 v1, 32, v1
	v_lshlrev_b64 v[14:15], v1, v[14:15]
	v_sub_nc_u32_e32 v1, 32, v1
	v_min_u32_e32 v3, 1, v14
	v_or_b32_e32 v3, v15, v3
	v_cvt_f32_u32_e32 v3, v3
	v_ldexp_f32 v1, v3, v1
	s_branch .LBB22_1236
.LBB22_1234:
	s_mov_b32 s2, -1
                                        ; implicit-def: $vgpr1
.LBB22_1235:
	s_mov_b32 s3, 0
.LBB22_1236:
	s_and_b32 vcc_lo, exec_lo, s3
	s_cbranch_vccz .LBB22_1254
; %bb.1237:
	s_cmp_lt_i32 s1, 27
	s_cbranch_scc1 .LBB22_1240
; %bb.1238:
	s_cmp_gt_i32 s1, 27
	s_cbranch_scc0 .LBB22_1241
; %bb.1239:
	global_load_dword v1, v[12:13], off
	s_mov_b32 s3, 0
	s_waitcnt vmcnt(0)
	v_cvt_f32_u32_e32 v1, v1
	s_branch .LBB22_1242
.LBB22_1240:
	s_mov_b32 s3, -1
                                        ; implicit-def: $vgpr1
	s_branch .LBB22_1245
.LBB22_1241:
	s_mov_b32 s3, -1
                                        ; implicit-def: $vgpr1
.LBB22_1242:
	s_andn2_b32 vcc_lo, exec_lo, s3
	s_cbranch_vccnz .LBB22_1244
; %bb.1243:
	global_load_ushort v1, v[12:13], off
	s_waitcnt vmcnt(0)
	v_cvt_f32_u32_e32 v1, v1
.LBB22_1244:
	s_mov_b32 s3, 0
.LBB22_1245:
	s_andn2_b32 vcc_lo, exec_lo, s3
	s_cbranch_vccnz .LBB22_1253
; %bb.1246:
	global_load_ubyte v3, v[12:13], off
	s_mov_b32 s3, 0
	s_mov_b32 s6, exec_lo
	s_waitcnt vmcnt(0)
	v_cmpx_lt_i16_e32 0x7f, v3
	s_xor_b32 s6, exec_lo, s6
	s_cbranch_execz .LBB22_1266
; %bb.1247:
	s_mov_b32 s3, -1
	s_mov_b32 s7, exec_lo
	v_cmpx_eq_u16_e32 0x80, v3
; %bb.1248:
	s_xor_b32 s3, exec_lo, -1
; %bb.1249:
	s_or_b32 exec_lo, exec_lo, s7
	s_and_b32 s3, s3, exec_lo
	s_or_saveexec_b32 s6, s6
	v_mov_b32_e32 v1, 0x7f800001
	s_xor_b32 exec_lo, exec_lo, s6
	s_cbranch_execnz .LBB22_1267
.LBB22_1250:
	s_or_b32 exec_lo, exec_lo, s6
	s_and_saveexec_b32 s6, s3
	s_cbranch_execz .LBB22_1252
.LBB22_1251:
	v_and_b32_e32 v1, 0xffff, v3
	v_lshlrev_b32_e32 v3, 24, v3
	v_and_b32_e32 v5, 7, v1
	v_bfe_u32 v14, v1, 3, 4
	v_and_b32_e32 v3, 0x80000000, v3
	v_ffbh_u32_e32 v8, v5
	v_cmp_eq_u32_e32 vcc_lo, 0, v14
	v_min_u32_e32 v8, 32, v8
	v_subrev_nc_u32_e32 v10, 28, v8
	v_sub_nc_u32_e32 v8, 29, v8
	v_lshlrev_b32_e32 v1, v10, v1
	v_cndmask_b32_e32 v8, v14, v8, vcc_lo
	v_and_b32_e32 v1, 7, v1
	v_cndmask_b32_e32 v1, v5, v1, vcc_lo
	v_lshl_add_u32 v5, v8, 23, 0x3b800000
	v_lshlrev_b32_e32 v1, 20, v1
	v_or3_b32 v1, v3, v5, v1
.LBB22_1252:
	s_or_b32 exec_lo, exec_lo, s6
.LBB22_1253:
	s_mov_b32 s6, -1
.LBB22_1254:
	s_branch .LBB22_1286
.LBB22_1255:
	s_cmp_gt_i32 s1, 22
	s_cbranch_scc0 .LBB22_1265
; %bb.1256:
	s_cmp_lt_i32 s1, 24
	s_cbranch_scc1 .LBB22_1268
; %bb.1257:
	s_cmp_gt_i32 s1, 24
	s_cbranch_scc0 .LBB22_1269
; %bb.1258:
	global_load_ubyte v3, v[12:13], off
	s_mov_b32 s3, 0
	s_mov_b32 s5, exec_lo
	s_waitcnt vmcnt(0)
	v_cmpx_lt_i16_e32 0x7f, v3
	s_xor_b32 s5, exec_lo, s5
	s_cbranch_execz .LBB22_1280
; %bb.1259:
	s_mov_b32 s3, -1
	s_mov_b32 s6, exec_lo
	v_cmpx_eq_u16_e32 0x80, v3
; %bb.1260:
	s_xor_b32 s3, exec_lo, -1
; %bb.1261:
	s_or_b32 exec_lo, exec_lo, s6
	s_and_b32 s3, s3, exec_lo
	s_or_saveexec_b32 s5, s5
	v_mov_b32_e32 v1, 0x7f800001
	s_xor_b32 exec_lo, exec_lo, s5
	s_cbranch_execnz .LBB22_1281
.LBB22_1262:
	s_or_b32 exec_lo, exec_lo, s5
	s_and_saveexec_b32 s5, s3
	s_cbranch_execz .LBB22_1264
.LBB22_1263:
	v_and_b32_e32 v1, 0xffff, v3
	v_lshlrev_b32_e32 v3, 24, v3
	v_and_b32_e32 v5, 3, v1
	v_bfe_u32 v14, v1, 2, 5
	v_and_b32_e32 v3, 0x80000000, v3
	v_ffbh_u32_e32 v8, v5
	v_cmp_eq_u32_e32 vcc_lo, 0, v14
	v_min_u32_e32 v8, 32, v8
	v_subrev_nc_u32_e32 v10, 29, v8
	v_sub_nc_u32_e32 v8, 30, v8
	v_lshlrev_b32_e32 v1, v10, v1
	v_cndmask_b32_e32 v8, v14, v8, vcc_lo
	v_and_b32_e32 v1, 3, v1
	v_cndmask_b32_e32 v1, v5, v1, vcc_lo
	v_lshl_add_u32 v5, v8, 23, 0x37800000
	v_lshlrev_b32_e32 v1, 21, v1
	v_or3_b32 v1, v3, v5, v1
.LBB22_1264:
	s_or_b32 exec_lo, exec_lo, s5
	s_mov_b32 s3, 0
	s_branch .LBB22_1270
.LBB22_1265:
                                        ; implicit-def: $vgpr1
	s_mov_b32 s5, 0
	s_branch .LBB22_1276
.LBB22_1266:
	s_or_saveexec_b32 s6, s6
	v_mov_b32_e32 v1, 0x7f800001
	s_xor_b32 exec_lo, exec_lo, s6
	s_cbranch_execz .LBB22_1250
.LBB22_1267:
	v_cmp_ne_u16_e32 vcc_lo, 0, v3
	v_mov_b32_e32 v1, 0
	s_andn2_b32 s3, s3, exec_lo
	s_and_b32 s7, vcc_lo, exec_lo
	s_or_b32 s3, s3, s7
	s_or_b32 exec_lo, exec_lo, s6
	s_and_saveexec_b32 s6, s3
	s_cbranch_execnz .LBB22_1251
	s_branch .LBB22_1252
.LBB22_1268:
	s_mov_b32 s3, -1
                                        ; implicit-def: $vgpr1
	s_branch .LBB22_1273
.LBB22_1269:
	s_mov_b32 s3, -1
                                        ; implicit-def: $vgpr1
.LBB22_1270:
	s_and_b32 vcc_lo, exec_lo, s3
	s_cbranch_vccz .LBB22_1272
; %bb.1271:
	global_load_ubyte v1, v[12:13], off
	s_waitcnt vmcnt(0)
	v_lshlrev_b32_e32 v1, 24, v1
	v_and_b32_e32 v3, 0x7f000000, v1
	v_ffbh_u32_e32 v5, v3
	v_add_nc_u32_e32 v10, 0x1000000, v3
	v_cmp_ne_u32_e32 vcc_lo, 0, v3
	v_min_u32_e32 v5, 32, v5
	v_sub_nc_u32_e64 v5, v5, 4 clamp
	v_lshlrev_b32_e32 v8, v5, v3
	v_lshlrev_b32_e32 v5, 23, v5
	v_lshrrev_b32_e32 v8, 4, v8
	v_sub_nc_u32_e32 v5, v8, v5
	v_ashrrev_i32_e32 v8, 8, v10
	v_add_nc_u32_e32 v5, 0x3c000000, v5
	v_and_or_b32 v5, 0x7f800000, v8, v5
	v_cndmask_b32_e32 v3, 0, v5, vcc_lo
	v_and_or_b32 v1, 0x80000000, v1, v3
.LBB22_1272:
	s_mov_b32 s3, 0
.LBB22_1273:
	s_andn2_b32 vcc_lo, exec_lo, s3
	s_cbranch_vccnz .LBB22_1275
; %bb.1274:
	global_load_ubyte v1, v[12:13], off
	s_waitcnt vmcnt(0)
	v_lshlrev_b32_e32 v3, 25, v1
	v_lshlrev_b16 v1, 8, v1
	v_lshrrev_b32_e32 v5, 4, v3
	v_and_or_b32 v8, 0x7f00, v1, 0.5
	v_cmp_gt_u32_e32 vcc_lo, 0x8000000, v3
	v_bfe_i32 v1, v1, 0, 16
	v_or_b32_e32 v5, 0x70000000, v5
	v_add_f32_e32 v8, -0.5, v8
	v_mul_f32_e32 v5, 0x7800000, v5
	v_cndmask_b32_e32 v3, v5, v8, vcc_lo
	v_and_or_b32 v1, 0x80000000, v1, v3
.LBB22_1275:
	s_mov_b32 s6, -1
	s_mov_b32 s5, 0
	s_cbranch_execnz .LBB22_1286
.LBB22_1276:
	s_cmp_gt_i32 s1, 14
	s_cbranch_scc0 .LBB22_1279
; %bb.1277:
	s_cmp_eq_u32 s1, 15
	s_cbranch_scc0 .LBB22_1282
; %bb.1278:
	global_load_ushort v1, v[12:13], off
	s_mov_b32 s2, 0
	s_mov_b32 s6, -1
	s_waitcnt vmcnt(0)
	v_lshlrev_b32_e32 v1, 16, v1
	s_branch .LBB22_1283
.LBB22_1279:
	s_mov_b32 s3, -1
                                        ; implicit-def: $vgpr1
	s_branch .LBB22_1284
.LBB22_1280:
	s_or_saveexec_b32 s5, s5
	v_mov_b32_e32 v1, 0x7f800001
	s_xor_b32 exec_lo, exec_lo, s5
	s_cbranch_execz .LBB22_1262
.LBB22_1281:
	v_cmp_ne_u16_e32 vcc_lo, 0, v3
	v_mov_b32_e32 v1, 0
	s_andn2_b32 s3, s3, exec_lo
	s_and_b32 s6, vcc_lo, exec_lo
	s_or_b32 s3, s3, s6
	s_or_b32 exec_lo, exec_lo, s5
	s_and_saveexec_b32 s5, s3
	s_cbranch_execnz .LBB22_1263
	s_branch .LBB22_1264
.LBB22_1282:
	s_mov_b32 s2, -1
                                        ; implicit-def: $vgpr1
.LBB22_1283:
	s_mov_b32 s3, 0
.LBB22_1284:
	s_and_b32 vcc_lo, exec_lo, s3
	s_cbranch_vccz .LBB22_1286
; %bb.1285:
	s_cmp_lg_u32 s1, 11
	s_mov_b32 s5, -1
	s_cselect_b32 s2, -1, 0
.LBB22_1286:
	s_and_b32 vcc_lo, exec_lo, s2
	s_mov_b32 s3, s12
	s_cbranch_vccnz .LBB22_1363
; %bb.1287:
	s_andn2_b32 vcc_lo, exec_lo, s5
	s_cbranch_vccnz .LBB22_1289
.LBB22_1288:
	global_load_ubyte v1, v[12:13], off
	s_mov_b32 s6, -1
	s_waitcnt vmcnt(0)
	v_cmp_ne_u16_e32 vcc_lo, 0, v1
	v_cndmask_b32_e64 v1, 0, 1.0, vcc_lo
.LBB22_1289:
	s_branch .LBB22_1218
.LBB22_1290:
	s_and_b32 s0, 0xffff, s0
	s_cmp_lt_i32 s0, 5
	s_cbranch_scc1 .LBB22_1295
; %bb.1291:
	s_cmp_lt_i32 s0, 8
	s_cbranch_scc1 .LBB22_1296
; %bb.1292:
	;; [unrolled: 3-line block ×3, first 2 shown]
	s_cmp_gt_i32 s0, 9
	s_cbranch_scc0 .LBB22_1298
; %bb.1294:
	global_load_dwordx2 v[14:15], v[12:13], off
	s_mov_b32 s1, 0
	s_waitcnt vmcnt(0)
	v_cvt_f32_f64_e32 v1, v[14:15]
	s_branch .LBB22_1299
.LBB22_1295:
                                        ; implicit-def: $vgpr1
	s_branch .LBB22_1316
.LBB22_1296:
                                        ; implicit-def: $vgpr1
	s_branch .LBB22_1305
.LBB22_1297:
	s_mov_b32 s1, -1
                                        ; implicit-def: $vgpr1
	s_branch .LBB22_1302
.LBB22_1298:
	s_mov_b32 s1, -1
                                        ; implicit-def: $vgpr1
.LBB22_1299:
	s_andn2_b32 vcc_lo, exec_lo, s1
	s_cbranch_vccnz .LBB22_1301
; %bb.1300:
	global_load_dword v1, v[12:13], off
.LBB22_1301:
	s_mov_b32 s1, 0
.LBB22_1302:
	s_andn2_b32 vcc_lo, exec_lo, s1
	s_cbranch_vccnz .LBB22_1304
; %bb.1303:
	global_load_dword v1, v[12:13], off
	s_waitcnt vmcnt(0)
	v_cvt_f32_f16_e32 v1, v1
.LBB22_1304:
	s_cbranch_execnz .LBB22_1315
.LBB22_1305:
	s_cmp_lt_i32 s0, 6
	s_cbranch_scc1 .LBB22_1308
; %bb.1306:
	s_cmp_gt_i32 s0, 6
	s_cbranch_scc0 .LBB22_1309
; %bb.1307:
	global_load_dwordx2 v[14:15], v[12:13], off
	s_mov_b32 s1, 0
	s_waitcnt vmcnt(0)
	v_cvt_f32_f64_e32 v1, v[14:15]
	s_branch .LBB22_1310
.LBB22_1308:
	s_mov_b32 s1, -1
                                        ; implicit-def: $vgpr1
	s_branch .LBB22_1313
.LBB22_1309:
	s_mov_b32 s1, -1
                                        ; implicit-def: $vgpr1
.LBB22_1310:
	s_andn2_b32 vcc_lo, exec_lo, s1
	s_cbranch_vccnz .LBB22_1312
; %bb.1311:
	global_load_dword v1, v[12:13], off
.LBB22_1312:
	s_mov_b32 s1, 0
.LBB22_1313:
	s_andn2_b32 vcc_lo, exec_lo, s1
	s_cbranch_vccnz .LBB22_1315
; %bb.1314:
	global_load_ushort v1, v[12:13], off
	s_waitcnt vmcnt(0)
	v_cvt_f32_f16_e32 v1, v1
.LBB22_1315:
	s_cbranch_execnz .LBB22_1334
.LBB22_1316:
	s_cmp_lt_i32 s0, 2
	s_cbranch_scc1 .LBB22_1320
; %bb.1317:
	s_cmp_lt_i32 s0, 3
	s_cbranch_scc1 .LBB22_1321
; %bb.1318:
	s_cmp_gt_i32 s0, 3
	s_cbranch_scc0 .LBB22_1322
; %bb.1319:
	global_load_dwordx2 v[14:15], v[12:13], off
	s_mov_b32 s1, 0
	s_waitcnt vmcnt(0)
	v_xor_b32_e32 v1, v14, v15
	v_ffbh_i32_e32 v3, v15
	v_ashrrev_i32_e32 v1, 31, v1
	v_add_nc_u32_e32 v3, -1, v3
	v_add_nc_u32_e32 v1, 32, v1
	v_min_u32_e32 v1, v3, v1
	v_lshlrev_b64 v[14:15], v1, v[14:15]
	v_sub_nc_u32_e32 v1, 32, v1
	v_min_u32_e32 v3, 1, v14
	v_or_b32_e32 v3, v15, v3
	v_cvt_f32_i32_e32 v3, v3
	v_ldexp_f32 v1, v3, v1
	s_branch .LBB22_1323
.LBB22_1320:
                                        ; implicit-def: $vgpr1
	s_branch .LBB22_1329
.LBB22_1321:
	s_mov_b32 s1, -1
                                        ; implicit-def: $vgpr1
	s_branch .LBB22_1326
.LBB22_1322:
	s_mov_b32 s1, -1
                                        ; implicit-def: $vgpr1
.LBB22_1323:
	s_andn2_b32 vcc_lo, exec_lo, s1
	s_cbranch_vccnz .LBB22_1325
; %bb.1324:
	global_load_dword v1, v[12:13], off
	s_waitcnt vmcnt(0)
	v_cvt_f32_i32_e32 v1, v1
.LBB22_1325:
	s_mov_b32 s1, 0
.LBB22_1326:
	s_andn2_b32 vcc_lo, exec_lo, s1
	s_cbranch_vccnz .LBB22_1328
; %bb.1327:
	global_load_sshort v1, v[12:13], off
	s_waitcnt vmcnt(0)
	v_cvt_f32_i32_e32 v1, v1
.LBB22_1328:
	s_cbranch_execnz .LBB22_1334
.LBB22_1329:
	s_cmp_gt_i32 s0, 0
	s_mov_b32 s0, 0
	s_cbranch_scc0 .LBB22_1331
; %bb.1330:
	global_load_sbyte v1, v[12:13], off
	s_waitcnt vmcnt(0)
	v_cvt_f32_i32_e32 v1, v1
	s_branch .LBB22_1332
.LBB22_1331:
	s_mov_b32 s0, -1
                                        ; implicit-def: $vgpr1
.LBB22_1332:
	s_andn2_b32 vcc_lo, exec_lo, s0
	s_cbranch_vccnz .LBB22_1334
; %bb.1333:
	global_load_ubyte v1, v[12:13], off
	s_waitcnt vmcnt(0)
	v_cvt_f32_ubyte0_e32 v1, v1
.LBB22_1334:
.LBB22_1335:
                                        ; implicit-def: $vgpr5
	s_mov_b32 s0, exec_lo
	s_waitcnt vmcnt(0)
	v_cmpx_ge_f32_e32 0x40a00000, v1
	s_xor_b32 s5, exec_lo, s0
	s_cbranch_execz .LBB22_1341
; %bb.1336:
	v_mov_b32_e32 v5, 0xff800000
	s_mov_b32 s6, exec_lo
	v_cmpx_neq_f32_e32 0, v1
	s_cbranch_execz .LBB22_1340
; %bb.1337:
	v_mov_b32_e32 v5, 0x7fc00000
	s_mov_b32 s7, exec_lo
	v_cmpx_nge_f32_e32 0, v1
	s_cbranch_execz .LBB22_1339
; %bb.1338:
	v_mul_f32_e32 v3, v1, v1
	v_cmp_gt_f32_e64 s0, 0x800000, v1
	v_div_scale_f32 v17, null, v1, v1, -1.0
	v_div_scale_f32 v26, s2, -1.0, v1, -1.0
	v_fmaak_f32 v5, 0, v3, 0x4414934d
	v_fmaak_f32 v8, 0, v3, 0x441b3589
	;; [unrolled: 1-line block ×4, first 2 shown]
	v_cndmask_b32_e64 v16, 0, 32, s0
	v_fmaak_f32 v5, v3, v5, 0x48660b06
	v_fmaak_f32 v8, v3, v8, 0x487af6d0
	;; [unrolled: 1-line block ×4, first 2 shown]
	v_rcp_f32_e32 v18, v17
	v_fmaak_f32 v5, v3, v5, 0x4c8c277d
	v_fmaak_f32 v8, v3, v8, 0x4c9f4aa7
	;; [unrolled: 1-line block ×4, first 2 shown]
	v_ldexp_f32 v16, v1, v16
	v_fmaak_f32 v5, v3, v5, 0x508bc61d
	v_fmaak_f32 v8, v3, v8, 0x50a509fc
	;; [unrolled: 1-line block ×4, first 2 shown]
	v_log_f32_e32 v16, v16
	v_fmaak_f32 v5, v3, v5, 0x5461faf8
	v_fmaak_f32 v8, v3, v8, 0x548a37dc
	;; [unrolled: 1-line block ×3, first 2 shown]
	v_fma_f32 v23, -v17, v18, 1.0
	v_fmaak_f32 v5, v3, v5, 0x580d1937
	v_fmaak_f32 v8, v3, v8, 0x58325852
	v_fmaak_f32 v10, v3, v10, 0xdd2cf20b
	v_fmac_f32_e32 v18, v23, v18
	v_mul_f32_e32 v27, 0x3f317217, v16
	v_fmaak_f32 v5, v3, v5, 0x5b741f1e
	v_fmaak_f32 v8, v3, v8, 0x5b9f0600
	v_fma_f32 v23, 0x3f317217, v16, -v27
	v_fmaak_f32 v5, v3, v5, 0x5e5c878d
	v_fmaak_f32 v3, v3, v8, 0x5e93bcac
	v_div_scale_f32 v8, null, v5, v5, v10
	v_div_scale_f32 v13, null, v3, v3, v12
	v_div_scale_f32 v21, vcc_lo, v10, v5, v10
	v_rcp_f32_e32 v14, v8
	v_rcp_f32_e32 v15, v13
	v_div_scale_f32 v22, s1, v12, v3, v12
	v_fma_f32 v19, -v8, v14, 1.0
	v_fma_f32 v20, -v13, v15, 1.0
	v_fmac_f32_e32 v14, v19, v14
	v_fmac_f32_e32 v15, v20, v15
	v_mul_f32_e32 v19, v21, v14
	v_mul_f32_e32 v20, v22, v15
	v_fma_f32 v24, -v8, v19, v21
	v_fma_f32 v25, -v13, v20, v22
	v_fmac_f32_e32 v19, v24, v14
	v_fmac_f32_e32 v20, v25, v15
	v_fma_f32 v8, -v8, v19, v21
	v_mul_f32_e32 v21, v26, v18
	v_fma_f32 v13, -v13, v20, v22
	v_div_fmas_f32 v8, v8, v14, v19
	s_mov_b32 vcc_lo, s1
	v_fma_f32 v14, -v17, v21, v26
	v_div_fmas_f32 v13, v13, v15, v20
	v_fmamk_f32 v15, v16, 0x3377d1cf, v23
	v_cmp_gt_f32_e64 vcc_lo, 0x7f800000, |v16|
	v_fmac_f32_e32 v21, v14, v18
	v_div_fixup_f32 v3, v13, v3, v12
	v_fmac_f32_e32 v15, 0x3f317217, v16
	v_fmaak_f32 v12, v1, v1, 0xc16ae95a
	v_fmaak_f32 v13, v1, v1, 0xc244dfb3
	v_fma_f32 v17, -v17, v21, v26
	v_mul_f32_e32 v3, v1, v3
	v_cndmask_b32_e32 v15, v16, v15, vcc_lo
	s_mov_b32 vcc_lo, s2
	v_cndmask_b32_e64 v14, 0, 0x41b17218, s0
	v_mul_f32_e32 v3, v12, v3
	v_div_fmas_f32 v12, v17, v18, v21
	v_sub_f32_e32 v14, v15, v14
	v_mul_f32_e32 v3, v13, v3
	v_div_fixup_f32 v12, v12, v1, -1.0
	v_fmac_f32_e32 v12, v14, v3
	v_div_fixup_f32 v3, v8, v5, v10
	v_mul_f32_e32 v5, 0x3f22f983, v12
	v_fmac_f32_e32 v5, v1, v3
.LBB22_1339:
	s_or_b32 exec_lo, exec_lo, s7
.LBB22_1340:
	s_or_b32 exec_lo, exec_lo, s6
                                        ; implicit-def: $vgpr1
.LBB22_1341:
	s_andn2_saveexec_b32 s5, s5
	s_cbranch_execz .LBB22_1351
; %bb.1342:
	v_add_f32_e32 v3, 0xc016cbe4, v1
                                        ; implicit-def: $vgpr10
                                        ; implicit-def: $vgpr8
	v_and_b32_e32 v5, 0x7fffffff, v3
	v_cmp_ngt_f32_e64 s2, 0x48000000, |v3|
	s_and_saveexec_b32 s0, s2
	s_xor_b32 s6, exec_lo, s0
	s_cbranch_execz .LBB22_1344
; %bb.1343:
	s_mov_b32 s0, 0x7fffff
	v_mov_b32_e32 v14, 0
	v_and_or_b32 v8, v5, s0, 0x800000
	v_lshrrev_b32_e32 v10, 23, v5
	v_mad_u64_u32 v[12:13], null, 0xfe5163ab, v8, 0
	v_add_nc_u32_e32 v10, 0xffffff88, v10
	v_cmp_lt_u32_e32 vcc_lo, 63, v10
	v_mad_u64_u32 v[15:16], null, 0x3c439041, v8, v[13:14]
	v_cndmask_b32_e64 v20, 0, 0xffffffc0, vcc_lo
	v_mov_b32_e32 v13, v16
	v_add_nc_u32_e32 v10, v20, v10
	v_mad_u64_u32 v[16:17], null, 0xdb629599, v8, v[13:14]
	v_cmp_lt_u32_e64 s0, 31, v10
	v_cndmask_b32_e64 v21, 0, 0xffffffe0, s0
	v_mov_b32_e32 v13, v17
	v_cndmask_b32_e32 v12, v16, v12, vcc_lo
	v_add_nc_u32_e32 v10, v21, v10
	v_mad_u64_u32 v[17:18], null, 0xf534ddc0, v8, v[13:14]
	v_cmp_lt_u32_e64 s1, 31, v10
	v_mov_b32_e32 v13, v18
	v_mad_u64_u32 v[18:19], null, 0xfc2757d1, v8, v[13:14]
	v_mov_b32_e32 v13, v19
	v_mad_u64_u32 v[19:20], null, 0x4e441529, v8, v[13:14]
	v_mov_b32_e32 v13, v20
	v_cndmask_b32_e32 v20, v19, v17, vcc_lo
	v_mad_u64_u32 v[13:14], null, 0xa2f9836e, v8, v[13:14]
	v_cndmask_b32_e64 v8, 0, 0xffffffe0, s1
	v_add_nc_u32_e32 v8, v8, v10
	v_cndmask_b32_e32 v13, v13, v18, vcc_lo
	v_cndmask_b32_e32 v14, v14, v19, vcc_lo
	;; [unrolled: 1-line block ×4, first 2 shown]
	v_sub_nc_u32_e32 v17, 32, v8
	v_cndmask_b32_e64 v15, v13, v20, s0
	v_cndmask_b32_e64 v13, v14, v13, s0
	;; [unrolled: 1-line block ×4, first 2 shown]
	v_cmp_eq_u32_e32 vcc_lo, 0, v8
	v_cndmask_b32_e64 v10, v10, v12, s0
	v_cndmask_b32_e64 v13, v13, v15, s1
	;; [unrolled: 1-line block ×5, first 2 shown]
	v_alignbit_b32 v19, v13, v15, v17
	v_alignbit_b32 v16, v15, v14, v17
	v_alignbit_b32 v17, v14, v10, v17
	v_cndmask_b32_e32 v8, v19, v13, vcc_lo
	v_cndmask_b32_e32 v12, v16, v15, vcc_lo
	;; [unrolled: 1-line block ×3, first 2 shown]
	v_bfe_u32 v13, v8, 29, 1
	v_alignbit_b32 v15, v8, v12, 30
	v_alignbit_b32 v12, v12, v14, 30
	;; [unrolled: 1-line block ×3, first 2 shown]
	v_sub_nc_u32_e32 v16, 0, v13
	v_xor_b32_e32 v15, v15, v16
	v_xor_b32_e32 v12, v12, v16
	v_xor_b32_e32 v10, v10, v16
	v_lshrrev_b32_e32 v16, 29, v8
	v_ffbh_u32_e32 v17, v15
	v_min_u32_e32 v17, 32, v17
	v_sub_nc_u32_e32 v14, 31, v17
	v_lshlrev_b32_e32 v18, 23, v17
	v_alignbit_b32 v15, v15, v12, v14
	v_alignbit_b32 v10, v12, v10, v14
	v_lshlrev_b32_e32 v12, 31, v16
	v_alignbit_b32 v14, v15, v10, 9
	v_or_b32_e32 v16, 0.5, v12
	v_lshrrev_b32_e32 v15, 9, v15
	v_or_b32_e32 v12, 0x33000000, v12
	v_ffbh_u32_e32 v19, v14
	v_sub_nc_u32_e32 v16, v16, v18
	v_min_u32_e32 v18, 32, v19
	v_or_b32_e32 v15, v15, v16
	v_not_b32_e32 v16, v18
	v_mul_f32_e32 v19, 0x3fc90fda, v15
	v_add_lshl_u32 v17, v18, v17, 23
	v_alignbit_b32 v10, v14, v10, v16
	v_fma_f32 v14, 0x3fc90fda, v15, -v19
	v_sub_nc_u32_e32 v12, v12, v17
	v_lshrrev_b32_e32 v10, 9, v10
	v_fmamk_f32 v14, v15, 0x33a22168, v14
	v_or_b32_e32 v10, v12, v10
	v_fmac_f32_e32 v14, 0x3fc90fda, v10
	v_lshrrev_b32_e32 v10, 30, v8
	v_add_f32_e32 v8, v19, v14
	v_add_nc_u32_e32 v10, v13, v10
	s_andn2_saveexec_b32 s0, s6
	s_branch .LBB22_1345
.LBB22_1344:
	s_andn2_saveexec_b32 s0, s6
.LBB22_1345:
	v_mul_f32_e64 v8, 0x3f22f983, |v3|
	v_rndne_f32_e32 v10, v8
	v_fma_f32 v8, 0xbfc90fda, v10, |v3|
	v_fmamk_f32 v8, v10, 0xb3a22168, v8
	v_fmamk_f32 v8, v10, 0xa7c234c4, v8
	v_cvt_i32_f32_e32 v10, v10
; %bb.1346:
	s_or_b32 exec_lo, exec_lo, s0
                                        ; implicit-def: $vgpr13
                                        ; implicit-def: $vgpr12
	s_and_saveexec_b32 s0, s2
	s_xor_b32 s2, exec_lo, s0
	s_cbranch_execz .LBB22_1348
; %bb.1347:
	s_mov_b32 s0, 0x7fffff
	v_mov_b32_e32 v14, 0
	v_and_or_b32 v21, v5, s0, 0x800000
	v_lshrrev_b32_e32 v19, 23, v5
	v_mad_u64_u32 v[12:13], null, 0xfe5163ab, v21, 0
	v_add_nc_u32_e32 v20, 0xffffff88, v19
	v_cmp_lt_u32_e32 vcc_lo, 63, v20
	v_mad_u64_u32 v[15:16], null, 0x3c439041, v21, v[13:14]
	v_cndmask_b32_e64 v22, 0, 0xffffffc0, vcc_lo
	v_mov_b32_e32 v13, v16
	v_add_nc_u32_e32 v22, v22, v20
	v_mad_u64_u32 v[16:17], null, 0xdb629599, v21, v[13:14]
	v_cmp_lt_u32_e64 s0, 31, v22
	v_cndmask_b32_e64 v23, 0, 0xffffffe0, s0
	v_mov_b32_e32 v13, v17
	v_cndmask_b32_e32 v12, v16, v12, vcc_lo
	v_mad_u64_u32 v[17:18], null, 0xf534ddc0, v21, v[13:14]
	v_mov_b32_e32 v13, v18
	v_cndmask_b32_e32 v15, v17, v15, vcc_lo
	v_mad_u64_u32 v[18:19], null, 0xfc2757d1, v21, v[13:14]
	v_cndmask_b32_e64 v12, v15, v12, s0
	v_mov_b32_e32 v13, v19
	v_mad_u64_u32 v[19:20], null, 0x4e441529, v21, v[13:14]
	v_mov_b32_e32 v13, v20
	v_add_nc_u32_e32 v20, v23, v22
	v_cndmask_b32_e32 v22, v19, v17, vcc_lo
	v_mad_u64_u32 v[13:14], null, 0xa2f9836e, v21, v[13:14]
	v_cmp_lt_u32_e64 s1, 31, v20
	v_cndmask_b32_e64 v21, 0, 0xffffffe0, s1
	v_cndmask_b32_e32 v13, v13, v18, vcc_lo
	v_cndmask_b32_e32 v14, v14, v19, vcc_lo
	;; [unrolled: 1-line block ×3, first 2 shown]
	v_add_nc_u32_e32 v19, v21, v20
	v_cndmask_b32_e64 v17, v13, v22, s0
	v_cndmask_b32_e64 v13, v14, v13, s0
	;; [unrolled: 1-line block ×4, first 2 shown]
	v_sub_nc_u32_e32 v20, 32, v19
	v_cmp_eq_u32_e32 vcc_lo, 0, v19
	v_cndmask_b32_e64 v13, v13, v17, s1
	v_cndmask_b32_e64 v17, v17, v14, s1
	;; [unrolled: 1-line block ×4, first 2 shown]
	v_alignbit_b32 v21, v13, v17, v20
	v_alignbit_b32 v16, v17, v14, v20
	v_alignbit_b32 v19, v14, v12, v20
	v_cndmask_b32_e32 v13, v21, v13, vcc_lo
	v_cndmask_b32_e32 v15, v16, v17, vcc_lo
	;; [unrolled: 1-line block ×3, first 2 shown]
	v_bfe_u32 v16, v13, 29, 1
	v_alignbit_b32 v17, v13, v15, 30
	v_alignbit_b32 v15, v15, v14, 30
	;; [unrolled: 1-line block ×3, first 2 shown]
	v_sub_nc_u32_e32 v18, 0, v16
	v_xor_b32_e32 v17, v17, v18
	v_xor_b32_e32 v14, v15, v18
	;; [unrolled: 1-line block ×3, first 2 shown]
	v_lshrrev_b32_e32 v18, 29, v13
	v_lshrrev_b32_e32 v13, 30, v13
	v_ffbh_u32_e32 v19, v17
	v_add_nc_u32_e32 v13, v16, v13
	v_min_u32_e32 v19, 32, v19
	v_sub_nc_u32_e32 v15, 31, v19
	v_lshlrev_b32_e32 v20, 23, v19
	v_alignbit_b32 v17, v17, v14, v15
	v_alignbit_b32 v12, v14, v12, v15
	v_lshlrev_b32_e32 v14, 31, v18
	v_alignbit_b32 v15, v17, v12, 9
	v_or_b32_e32 v18, 0.5, v14
	v_lshrrev_b32_e32 v17, 9, v17
	v_or_b32_e32 v14, 0x33000000, v14
	v_ffbh_u32_e32 v21, v15
	v_sub_nc_u32_e32 v18, v18, v20
	v_min_u32_e32 v20, 32, v21
	v_or_b32_e32 v17, v17, v18
	v_not_b32_e32 v18, v20
	v_mul_f32_e32 v21, 0x3fc90fda, v17
	v_add_lshl_u32 v19, v20, v19, 23
	v_alignbit_b32 v12, v15, v12, v18
	v_fma_f32 v15, 0x3fc90fda, v17, -v21
	v_sub_nc_u32_e32 v14, v14, v19
	v_lshrrev_b32_e32 v12, 9, v12
	v_fmamk_f32 v15, v17, 0x33a22168, v15
	v_or_b32_e32 v12, v14, v12
	v_fmac_f32_e32 v15, 0x3fc90fda, v12
	v_add_f32_e32 v12, v21, v15
	s_andn2_saveexec_b32 s0, s2
	s_cbranch_execnz .LBB22_1349
	s_branch .LBB22_1350
.LBB22_1348:
	s_andn2_saveexec_b32 s0, s2
.LBB22_1349:
	v_mul_f32_e64 v12, 0x3f22f983, |v3|
	v_rndne_f32_e32 v13, v12
	v_fma_f32 v12, 0xbfc90fda, v13, |v3|
	v_fmamk_f32 v12, v13, 0xb3a22168, v12
	v_fmamk_f32 v12, v13, 0xa7c234c4, v12
	v_cvt_i32_f32_e32 v13, v13
.LBB22_1350:
	s_or_b32 exec_lo, exec_lo, s0
	v_div_scale_f32 v14, null, v1, v1, 0x40a00000
	v_div_scale_f32 v17, vcc_lo, 0x40a00000, v1, 0x40a00000
	s_mov_b32 s0, 0xb94c1982
	v_rcp_f32_e32 v15, v14
	v_mul_f32_e32 v24, 0x4f800000, v1
	s_mov_b32 s1, 0x37d75334
	v_and_b32_e32 v19, 1, v13
	v_xor_b32_e32 v5, v5, v3
	v_lshlrev_b32_e32 v13, 30, v13
	v_and_b32_e32 v13, 0x80000000, v13
	v_fma_f32 v16, -v14, v15, 1.0
	v_fmac_f32_e32 v15, v16, v15
	v_mul_f32_e32 v16, v17, v15
	v_fma_f32 v18, -v14, v16, v17
	v_fmac_f32_e32 v16, v18, v15
	v_mul_f32_e32 v18, v12, v12
	v_fma_f32 v14, -v14, v16, v17
	v_fmaak_f32 v27, s0, v18, 0x3c0881c4
	v_fmaak_f32 v28, s1, v18, 0xbab64f3b
	v_div_fmas_f32 v14, v14, v15, v16
	v_mul_f32_e32 v15, v8, v8
	v_fmaak_f32 v28, v18, v28, 0x3d2aabf7
	v_and_b32_e32 v16, 1, v10
	v_fmaak_f32 v27, v18, v27, 0xbe2aaa9d
	v_div_fixup_f32 v14, v14, v1, 0x40a00000
	v_fmaak_f32 v25, s0, v15, 0x3c0881c4
	v_cmp_gt_f32_e64 s0, 0xf800000, v1
	v_fmaak_f32 v26, s1, v15, 0xbab64f3b
	v_fmaak_f32 v28, v18, v28, 0xbf000004
	v_mul_f32_e32 v17, v14, v14
	v_fmaak_f32 v25, v15, v25, 0xbe2aaa9d
	v_cndmask_b32_e64 v1, v1, v24, s0
	v_fmaak_f32 v26, v15, v26, 0x3d2aabf7
	v_mul_f32_e32 v27, v18, v27
	v_fmaak_f32 v20, 0, v17, 0x3d513fd3
	v_fmaak_f32 v21, 0, v17, 0x3a15c4d9
	;; [unrolled: 1-line block ×4, first 2 shown]
	v_mul_f32_e32 v25, v15, v25
	v_fmaak_f32 v20, v17, v20, 0x409f6dae
	v_fmaak_f32 v21, v17, v21, 0x3d8cfeeb
	;; [unrolled: 1-line block ×9, first 2 shown]
	v_fmac_f32_e32 v8, v8, v25
	v_fmaak_f32 v20, v17, v20, 0x43b763ca
	v_fmaak_f32 v21, v17, v21, 0x40a25d18
	;; [unrolled: 1-line block ×4, first 2 shown]
	v_sqrt_f32_e32 v31, v1
	v_fmaak_f32 v20, v17, v20, 0x4431b6ce
	v_fmaak_f32 v21, v17, v21, 0x410665cf
	v_fmaak_f32 v22, v17, v22, 0x4106c8e4
	v_fmaak_f32 v23, v17, v23, 0x45f9e855
	v_fma_f32 v15, v15, v26, 1.0
	v_fmaak_f32 v20, v17, v20, 0x44155f56
	v_fmaak_f32 v21, v17, v21, 0x40a6b6ea
	;; [unrolled: 1-line block ×4, first 2 shown]
	v_fma_f32 v18, v18, v28, 1.0
	v_fmaak_f32 v20, v17, v20, 0x4353b052
	v_fma_f32 v21, v17, v21, 1.0
	v_fma_f32 v22, v17, v22, 1.0
	v_fmaak_f32 v23, v17, v23, 0x43a80bfb
	v_cmp_eq_u32_e64 s2, 0, v16
	v_fmaak_f32 v17, v17, v20, 0x41c9a7fa
	v_lshlrev_b32_e32 v10, 30, v10
	v_div_scale_f32 v20, null, v21, v21, v22
	v_div_scale_f32 v34, vcc_lo, v22, v21, v22
	v_div_scale_f32 v29, null, v23, v23, v17
	v_rcp_f32_e32 v24, v20
	v_fmac_f32_e32 v12, v12, v27
	v_cndmask_b32_e64 v8, v15, v8, s2
	v_rcp_f32_e32 v30, v29
	v_cmp_eq_u32_e64 s2, 0, v19
	v_and_b32_e32 v10, 0x80000000, v10
	v_add_nc_u32_e32 v27, -1, v31
	v_cndmask_b32_e64 v12, -v12, v18, s2
	v_fma_f32 v32, -v20, v24, 1.0
	v_fma_f32 v15, -v27, v31, v1
	v_xor3_b32 v5, v5, v10, v8
	v_fma_f32 v33, -v29, v30, 1.0
	v_xor_b32_e32 v12, v13, v12
	v_fmac_f32_e32 v24, v32, v24
	v_div_scale_f32 v32, s1, v17, v23, v17
	v_fmac_f32_e32 v30, v33, v30
	v_add_nc_u32_e32 v33, 1, v31
	v_mul_f32_e32 v25, v34, v24
	v_mul_f32_e32 v26, v32, v30
	v_fma_f32 v16, -v33, v31, v1
	v_fma_f32 v28, -v20, v25, v34
	;; [unrolled: 1-line block ×3, first 2 shown]
	v_fmac_f32_e32 v25, v28, v24
	v_fmac_f32_e32 v26, v35, v30
	v_fma_f32 v18, -v20, v25, v34
	v_fma_f32 v8, -v29, v26, v32
	v_div_fmas_f32 v10, v18, v24, v25
	s_mov_b32 vcc_lo, s1
	v_cmp_ge_f32_e64 s1, 0, v15
	v_div_fmas_f32 v8, v8, v30, v26
	v_cmp_class_f32_e64 vcc_lo, v3, 0x1f8
	v_div_fixup_f32 v10, v10, v21, v22
	v_cndmask_b32_e64 v3, v31, v27, s1
	v_div_fixup_f32 v8, v8, v23, v17
	v_cmp_lt_f32_e64 s1, 0, v16
	v_cndmask_b32_e32 v12, 0x7fc00000, v12, vcc_lo
	v_cndmask_b32_e32 v5, 0x7fc00000, v5, vcc_lo
	v_cmp_class_f32_e64 vcc_lo, v1, 0x260
	v_mul_f32_e32 v8, v14, v8
	v_cndmask_b32_e64 v3, v3, v33, s1
	v_mul_f32_e32 v8, v8, v12
	v_mul_f32_e32 v13, 0x37800000, v3
	v_fmac_f32_e32 v8, v10, v5
	v_cndmask_b32_e64 v3, v3, v13, s0
	v_cndmask_b32_e32 v1, v3, v1, vcc_lo
	v_mul_f32_e32 v3, 0x3f4c422a, v8
	v_div_scale_f32 v5, null, v1, v1, v3
	v_rcp_f32_e32 v8, v5
	v_fma_f32 v10, -v5, v8, 1.0
	v_fmac_f32_e32 v8, v10, v8
	v_div_scale_f32 v10, vcc_lo, v3, v1, v3
	v_mul_f32_e32 v12, v10, v8
	v_fma_f32 v13, -v5, v12, v10
	v_fmac_f32_e32 v12, v13, v8
	v_fma_f32 v5, -v5, v12, v10
	v_div_fmas_f32 v5, v5, v8, v12
	v_div_fixup_f32 v5, v5, v1, v3
.LBB22_1351:
	s_or_b32 exec_lo, exec_lo, s5
	v_add_co_u32 v10, s1, s10, v11
	s_lshr_b32 s0, s4, 16
	v_add_co_ci_u32_e64 v11, null, s11, 0, s1
	s_and_b32 s5, s0, 0xff
	s_cmp_lt_i32 s5, 11
	s_cbranch_scc1 .LBB22_1358
; %bb.1352:
	s_and_b32 s0, 0xffff, s5
	s_mov_b32 s2, 0
	s_cmp_gt_i32 s0, 25
	s_cbranch_scc0 .LBB22_1360
; %bb.1353:
	s_cmp_gt_i32 s0, 28
	s_cbranch_scc0 .LBB22_1361
; %bb.1354:
	;; [unrolled: 3-line block ×4, first 2 shown]
	s_cmp_eq_u32 s0, 46
	s_mov_b32 s7, 0
	s_cbranch_scc0 .LBB22_1367
; %bb.1357:
	global_load_dword v1, v[10:11], off
	s_mov_b32 s1, 0
	s_mov_b32 s6, -1
	s_waitcnt vmcnt(0)
	v_lshlrev_b32_e32 v1, 16, v1
	s_branch .LBB22_1369
.LBB22_1358:
	s_mov_b32 s6, 0
                                        ; implicit-def: $vgpr1
	s_cbranch_execnz .LBB22_1434
.LBB22_1359:
	s_andn2_b32 vcc_lo, exec_lo, s6
	s_cbranch_vccnz .LBB22_1783
	s_branch .LBB22_1481
.LBB22_1360:
	s_mov_b32 s6, 0
	s_mov_b32 s1, 0
                                        ; implicit-def: $vgpr1
	s_cbranch_execnz .LBB22_1398
	s_branch .LBB22_1430
.LBB22_1361:
	s_mov_b32 s7, -1
	s_mov_b32 s6, 0
	s_mov_b32 s1, 0
                                        ; implicit-def: $vgpr1
	s_branch .LBB22_1379
.LBB22_1362:
	s_mov_b32 s7, -1
	s_mov_b32 s6, 0
	s_mov_b32 s1, 0
                                        ; implicit-def: $vgpr1
	s_branch .LBB22_1374
.LBB22_1363:
	s_or_b32 s3, s12, exec_lo
	s_trap 2
	s_cbranch_execz .LBB22_1288
	s_branch .LBB22_1289
.LBB22_1364:
	s_mov_b32 s7, -1
	s_mov_b32 s6, 0
	s_mov_b32 s1, 0
	s_branch .LBB22_1368
.LBB22_1365:
	s_andn2_saveexec_b32 s12, s12
	s_cbranch_execz .LBB22_1078
.LBB22_1366:
	v_add_f32_e64 v0, 0x42800000, |v1|
	s_andn2_b32 s11, s11, exec_lo
	v_and_b32_e32 v0, 0xff, v0
	v_cmp_ne_u32_e32 vcc_lo, 0, v0
	s_and_b32 s13, vcc_lo, exec_lo
	s_or_b32 s11, s11, s13
	s_or_b32 exec_lo, exec_lo, s12
	v_mov_b32_e32 v2, 0
	s_and_saveexec_b32 s12, s11
	s_cbranch_execnz .LBB22_1079
	s_branch .LBB22_1080
.LBB22_1367:
	s_mov_b32 s1, -1
	s_mov_b32 s6, 0
.LBB22_1368:
                                        ; implicit-def: $vgpr1
.LBB22_1369:
	s_and_b32 vcc_lo, exec_lo, s7
	s_cbranch_vccz .LBB22_1373
; %bb.1370:
	s_cmp_eq_u32 s0, 44
	s_cbranch_scc0 .LBB22_1372
; %bb.1371:
	global_load_ubyte v1, v[10:11], off
	s_mov_b32 s1, 0
	s_mov_b32 s6, -1
	s_waitcnt vmcnt(0)
	v_lshlrev_b32_e32 v3, 23, v1
	v_cmp_ne_u32_e32 vcc_lo, 0xff, v1
	v_cndmask_b32_e32 v3, 0x7f800001, v3, vcc_lo
	v_cmp_ne_u32_e32 vcc_lo, 0, v1
	v_cndmask_b32_e32 v1, 0x400000, v3, vcc_lo
	s_branch .LBB22_1373
.LBB22_1372:
	s_mov_b32 s1, -1
                                        ; implicit-def: $vgpr1
.LBB22_1373:
	s_mov_b32 s7, 0
.LBB22_1374:
	s_and_b32 vcc_lo, exec_lo, s7
	s_cbranch_vccz .LBB22_1378
; %bb.1375:
	s_cmp_eq_u32 s0, 29
	s_cbranch_scc0 .LBB22_1377
; %bb.1376:
	global_load_dwordx2 v[12:13], v[10:11], off
	s_mov_b32 s1, 0
	s_mov_b32 s6, -1
	s_mov_b32 s7, 0
	s_waitcnt vmcnt(0)
	v_ffbh_u32_e32 v1, v13
	v_min_u32_e32 v1, 32, v1
	v_lshlrev_b64 v[12:13], v1, v[12:13]
	v_sub_nc_u32_e32 v1, 32, v1
	v_min_u32_e32 v3, 1, v12
	v_or_b32_e32 v3, v13, v3
	v_cvt_f32_u32_e32 v3, v3
	v_ldexp_f32 v1, v3, v1
	s_branch .LBB22_1379
.LBB22_1377:
	s_mov_b32 s1, -1
                                        ; implicit-def: $vgpr1
.LBB22_1378:
	s_mov_b32 s7, 0
.LBB22_1379:
	s_and_b32 vcc_lo, exec_lo, s7
	s_cbranch_vccz .LBB22_1397
; %bb.1380:
	s_cmp_lt_i32 s0, 27
	s_cbranch_scc1 .LBB22_1383
; %bb.1381:
	s_cmp_gt_i32 s0, 27
	s_cbranch_scc0 .LBB22_1384
; %bb.1382:
	global_load_dword v1, v[10:11], off
	s_mov_b32 s6, 0
	s_waitcnt vmcnt(0)
	v_cvt_f32_u32_e32 v1, v1
	s_branch .LBB22_1385
.LBB22_1383:
	s_mov_b32 s6, -1
                                        ; implicit-def: $vgpr1
	s_branch .LBB22_1388
.LBB22_1384:
	s_mov_b32 s6, -1
                                        ; implicit-def: $vgpr1
.LBB22_1385:
	s_andn2_b32 vcc_lo, exec_lo, s6
	s_cbranch_vccnz .LBB22_1387
; %bb.1386:
	global_load_ushort v1, v[10:11], off
	s_waitcnt vmcnt(0)
	v_cvt_f32_u32_e32 v1, v1
.LBB22_1387:
	s_mov_b32 s6, 0
.LBB22_1388:
	s_andn2_b32 vcc_lo, exec_lo, s6
	s_cbranch_vccnz .LBB22_1396
; %bb.1389:
	global_load_ubyte v3, v[10:11], off
	s_mov_b32 s6, 0
	s_mov_b32 s7, exec_lo
	s_waitcnt vmcnt(0)
	v_cmpx_lt_i16_e32 0x7f, v3
	s_xor_b32 s7, exec_lo, s7
	s_cbranch_execz .LBB22_1409
; %bb.1390:
	s_mov_b32 s6, -1
	s_mov_b32 s14, exec_lo
	v_cmpx_eq_u16_e32 0x80, v3
; %bb.1391:
	s_xor_b32 s6, exec_lo, -1
; %bb.1392:
	s_or_b32 exec_lo, exec_lo, s14
	s_and_b32 s6, s6, exec_lo
	s_or_saveexec_b32 s7, s7
	v_mov_b32_e32 v1, 0x7f800001
	s_xor_b32 exec_lo, exec_lo, s7
	s_cbranch_execnz .LBB22_1410
.LBB22_1393:
	s_or_b32 exec_lo, exec_lo, s7
	s_and_saveexec_b32 s7, s6
	s_cbranch_execz .LBB22_1395
.LBB22_1394:
	v_and_b32_e32 v1, 0xffff, v3
	v_lshlrev_b32_e32 v3, 24, v3
	v_and_b32_e32 v8, 7, v1
	v_bfe_u32 v14, v1, 3, 4
	v_and_b32_e32 v3, 0x80000000, v3
	v_ffbh_u32_e32 v12, v8
	v_cmp_eq_u32_e32 vcc_lo, 0, v14
	v_min_u32_e32 v12, 32, v12
	v_subrev_nc_u32_e32 v13, 28, v12
	v_sub_nc_u32_e32 v12, 29, v12
	v_lshlrev_b32_e32 v1, v13, v1
	v_cndmask_b32_e32 v12, v14, v12, vcc_lo
	v_and_b32_e32 v1, 7, v1
	v_cndmask_b32_e32 v1, v8, v1, vcc_lo
	v_lshl_add_u32 v8, v12, 23, 0x3b800000
	v_lshlrev_b32_e32 v1, 20, v1
	v_or3_b32 v1, v3, v8, v1
.LBB22_1395:
	s_or_b32 exec_lo, exec_lo, s7
.LBB22_1396:
	s_mov_b32 s6, -1
.LBB22_1397:
	s_branch .LBB22_1430
.LBB22_1398:
	s_cmp_gt_i32 s0, 22
	s_cbranch_scc0 .LBB22_1408
; %bb.1399:
	s_cmp_lt_i32 s0, 24
	s_cbranch_scc1 .LBB22_1411
; %bb.1400:
	s_cmp_gt_i32 s0, 24
	s_cbranch_scc0 .LBB22_1412
; %bb.1401:
	global_load_ubyte v3, v[10:11], off
	s_mov_b32 s6, exec_lo
	s_waitcnt vmcnt(0)
	v_cmpx_lt_i16_e32 0x7f, v3
	s_xor_b32 s6, exec_lo, s6
	s_cbranch_execz .LBB22_1424
; %bb.1402:
	s_mov_b32 s2, -1
	s_mov_b32 s7, exec_lo
	v_cmpx_eq_u16_e32 0x80, v3
; %bb.1403:
	s_xor_b32 s2, exec_lo, -1
; %bb.1404:
	s_or_b32 exec_lo, exec_lo, s7
	s_and_b32 s2, s2, exec_lo
	s_or_saveexec_b32 s6, s6
	v_mov_b32_e32 v1, 0x7f800001
	s_xor_b32 exec_lo, exec_lo, s6
	s_cbranch_execnz .LBB22_1425
.LBB22_1405:
	s_or_b32 exec_lo, exec_lo, s6
	s_and_saveexec_b32 s6, s2
	s_cbranch_execz .LBB22_1407
.LBB22_1406:
	v_and_b32_e32 v1, 0xffff, v3
	v_lshlrev_b32_e32 v3, 24, v3
	v_and_b32_e32 v8, 3, v1
	v_bfe_u32 v14, v1, 2, 5
	v_and_b32_e32 v3, 0x80000000, v3
	v_ffbh_u32_e32 v12, v8
	v_cmp_eq_u32_e32 vcc_lo, 0, v14
	v_min_u32_e32 v12, 32, v12
	v_subrev_nc_u32_e32 v13, 29, v12
	v_sub_nc_u32_e32 v12, 30, v12
	v_lshlrev_b32_e32 v1, v13, v1
	v_cndmask_b32_e32 v12, v14, v12, vcc_lo
	v_and_b32_e32 v1, 3, v1
	v_cndmask_b32_e32 v1, v8, v1, vcc_lo
	v_lshl_add_u32 v8, v12, 23, 0x37800000
	v_lshlrev_b32_e32 v1, 21, v1
	v_or3_b32 v1, v3, v8, v1
.LBB22_1407:
	s_or_b32 exec_lo, exec_lo, s6
	s_mov_b32 s2, 0
	s_branch .LBB22_1413
.LBB22_1408:
	s_mov_b32 s2, -1
                                        ; implicit-def: $vgpr1
	s_branch .LBB22_1419
.LBB22_1409:
	s_or_saveexec_b32 s7, s7
	v_mov_b32_e32 v1, 0x7f800001
	s_xor_b32 exec_lo, exec_lo, s7
	s_cbranch_execz .LBB22_1393
.LBB22_1410:
	v_cmp_ne_u16_e32 vcc_lo, 0, v3
	v_mov_b32_e32 v1, 0
	s_andn2_b32 s6, s6, exec_lo
	s_and_b32 s14, vcc_lo, exec_lo
	s_or_b32 s6, s6, s14
	s_or_b32 exec_lo, exec_lo, s7
	s_and_saveexec_b32 s7, s6
	s_cbranch_execnz .LBB22_1394
	s_branch .LBB22_1395
.LBB22_1411:
	s_mov_b32 s2, -1
                                        ; implicit-def: $vgpr1
	s_branch .LBB22_1416
.LBB22_1412:
	s_mov_b32 s2, -1
                                        ; implicit-def: $vgpr1
.LBB22_1413:
	s_and_b32 vcc_lo, exec_lo, s2
	s_cbranch_vccz .LBB22_1415
; %bb.1414:
	global_load_ubyte v1, v[10:11], off
	s_waitcnt vmcnt(0)
	v_lshlrev_b32_e32 v1, 24, v1
	v_and_b32_e32 v3, 0x7f000000, v1
	v_ffbh_u32_e32 v8, v3
	v_add_nc_u32_e32 v13, 0x1000000, v3
	v_cmp_ne_u32_e32 vcc_lo, 0, v3
	v_min_u32_e32 v8, 32, v8
	v_sub_nc_u32_e64 v8, v8, 4 clamp
	v_lshlrev_b32_e32 v12, v8, v3
	v_lshlrev_b32_e32 v8, 23, v8
	v_lshrrev_b32_e32 v12, 4, v12
	v_sub_nc_u32_e32 v8, v12, v8
	v_ashrrev_i32_e32 v12, 8, v13
	v_add_nc_u32_e32 v8, 0x3c000000, v8
	v_and_or_b32 v8, 0x7f800000, v12, v8
	v_cndmask_b32_e32 v3, 0, v8, vcc_lo
	v_and_or_b32 v1, 0x80000000, v1, v3
.LBB22_1415:
	s_mov_b32 s2, 0
.LBB22_1416:
	s_andn2_b32 vcc_lo, exec_lo, s2
	s_cbranch_vccnz .LBB22_1418
; %bb.1417:
	global_load_ubyte v1, v[10:11], off
	s_waitcnt vmcnt(0)
	v_lshlrev_b32_e32 v3, 25, v1
	v_lshlrev_b16 v1, 8, v1
	v_lshrrev_b32_e32 v8, 4, v3
	v_and_or_b32 v12, 0x7f00, v1, 0.5
	v_cmp_gt_u32_e32 vcc_lo, 0x8000000, v3
	v_bfe_i32 v1, v1, 0, 16
	v_or_b32_e32 v8, 0x70000000, v8
	v_add_f32_e32 v12, -0.5, v12
	v_mul_f32_e32 v8, 0x7800000, v8
	v_cndmask_b32_e32 v3, v8, v12, vcc_lo
	v_and_or_b32 v1, 0x80000000, v1, v3
.LBB22_1418:
	s_mov_b32 s2, 0
	s_mov_b32 s6, -1
.LBB22_1419:
	s_andn2_b32 vcc_lo, exec_lo, s2
	s_mov_b32 s2, 0
	s_cbranch_vccnz .LBB22_1430
; %bb.1420:
	s_cmp_gt_i32 s0, 14
	s_cbranch_scc0 .LBB22_1423
; %bb.1421:
	s_cmp_eq_u32 s0, 15
	s_cbranch_scc0 .LBB22_1426
; %bb.1422:
	global_load_ushort v1, v[10:11], off
	s_mov_b32 s1, 0
	s_mov_b32 s6, -1
	s_waitcnt vmcnt(0)
	v_lshlrev_b32_e32 v1, 16, v1
	s_branch .LBB22_1428
.LBB22_1423:
	s_mov_b32 s2, -1
	s_branch .LBB22_1427
.LBB22_1424:
	s_or_saveexec_b32 s6, s6
	v_mov_b32_e32 v1, 0x7f800001
	s_xor_b32 exec_lo, exec_lo, s6
	s_cbranch_execz .LBB22_1405
.LBB22_1425:
	v_cmp_ne_u16_e32 vcc_lo, 0, v3
	v_mov_b32_e32 v1, 0
	s_andn2_b32 s2, s2, exec_lo
	s_and_b32 s7, vcc_lo, exec_lo
	s_or_b32 s2, s2, s7
	s_or_b32 exec_lo, exec_lo, s6
	s_and_saveexec_b32 s6, s2
	s_cbranch_execnz .LBB22_1406
	s_branch .LBB22_1407
.LBB22_1426:
	s_mov_b32 s1, -1
.LBB22_1427:
                                        ; implicit-def: $vgpr1
.LBB22_1428:
	s_and_b32 vcc_lo, exec_lo, s2
	s_mov_b32 s2, 0
	s_cbranch_vccz .LBB22_1430
; %bb.1429:
	s_cmp_lg_u32 s0, 11
	s_mov_b32 s2, -1
	s_cselect_b32 s1, -1, 0
.LBB22_1430:
	s_and_b32 vcc_lo, exec_lo, s1
	s_cbranch_vccnz .LBB22_1509
; %bb.1431:
	s_andn2_b32 vcc_lo, exec_lo, s2
	s_cbranch_vccnz .LBB22_1433
.LBB22_1432:
	global_load_ubyte v1, v[10:11], off
	s_mov_b32 s6, -1
	s_waitcnt vmcnt(0)
	v_cmp_ne_u16_e32 vcc_lo, 0, v1
	v_cndmask_b32_e64 v1, 0, 1.0, vcc_lo
.LBB22_1433:
	s_branch .LBB22_1359
.LBB22_1434:
	s_and_b32 s0, 0xffff, s5
	s_cmp_lt_i32 s0, 5
	s_cbranch_scc1 .LBB22_1439
; %bb.1435:
	s_cmp_lt_i32 s0, 8
	s_cbranch_scc1 .LBB22_1440
; %bb.1436:
	;; [unrolled: 3-line block ×3, first 2 shown]
	s_cmp_gt_i32 s0, 9
	s_cbranch_scc0 .LBB22_1442
; %bb.1438:
	global_load_dwordx2 v[12:13], v[10:11], off
	s_mov_b32 s1, 0
	s_waitcnt vmcnt(0)
	v_cvt_f32_f64_e32 v1, v[12:13]
	s_branch .LBB22_1443
.LBB22_1439:
                                        ; implicit-def: $vgpr1
	s_branch .LBB22_1461
.LBB22_1440:
	s_mov_b32 s1, -1
                                        ; implicit-def: $vgpr1
	s_branch .LBB22_1449
.LBB22_1441:
	s_mov_b32 s1, -1
                                        ; implicit-def: $vgpr1
	s_branch .LBB22_1446
.LBB22_1442:
	s_mov_b32 s1, -1
                                        ; implicit-def: $vgpr1
.LBB22_1443:
	s_andn2_b32 vcc_lo, exec_lo, s1
	s_cbranch_vccnz .LBB22_1445
; %bb.1444:
	global_load_dword v1, v[10:11], off
.LBB22_1445:
	s_mov_b32 s1, 0
.LBB22_1446:
	s_andn2_b32 vcc_lo, exec_lo, s1
	s_cbranch_vccnz .LBB22_1448
; %bb.1447:
	global_load_dword v1, v[10:11], off
	s_waitcnt vmcnt(0)
	v_cvt_f32_f16_e32 v1, v1
.LBB22_1448:
	s_mov_b32 s1, 0
.LBB22_1449:
	s_andn2_b32 vcc_lo, exec_lo, s1
	s_cbranch_vccnz .LBB22_1460
; %bb.1450:
	s_cmp_lt_i32 s0, 6
	s_cbranch_scc1 .LBB22_1453
; %bb.1451:
	s_cmp_gt_i32 s0, 6
	s_cbranch_scc0 .LBB22_1454
; %bb.1452:
	global_load_dwordx2 v[12:13], v[10:11], off
	s_mov_b32 s1, 0
	s_waitcnt vmcnt(0)
	v_cvt_f32_f64_e32 v1, v[12:13]
	s_branch .LBB22_1455
.LBB22_1453:
	s_mov_b32 s1, -1
                                        ; implicit-def: $vgpr1
	s_branch .LBB22_1458
.LBB22_1454:
	s_mov_b32 s1, -1
                                        ; implicit-def: $vgpr1
.LBB22_1455:
	s_andn2_b32 vcc_lo, exec_lo, s1
	s_cbranch_vccnz .LBB22_1457
; %bb.1456:
	global_load_dword v1, v[10:11], off
.LBB22_1457:
	s_mov_b32 s1, 0
.LBB22_1458:
	s_andn2_b32 vcc_lo, exec_lo, s1
	s_cbranch_vccnz .LBB22_1460
; %bb.1459:
	global_load_ushort v1, v[10:11], off
	s_waitcnt vmcnt(0)
	v_cvt_f32_f16_e32 v1, v1
.LBB22_1460:
	s_cbranch_execnz .LBB22_1480
.LBB22_1461:
	s_cmp_lt_i32 s0, 2
	s_cbranch_scc1 .LBB22_1465
; %bb.1462:
	s_cmp_lt_i32 s0, 3
	s_cbranch_scc1 .LBB22_1466
; %bb.1463:
	s_cmp_gt_i32 s0, 3
	s_cbranch_scc0 .LBB22_1467
; %bb.1464:
	global_load_dwordx2 v[12:13], v[10:11], off
	s_mov_b32 s1, 0
	s_waitcnt vmcnt(0)
	v_xor_b32_e32 v1, v12, v13
	v_ffbh_i32_e32 v3, v13
	v_ashrrev_i32_e32 v1, 31, v1
	v_add_nc_u32_e32 v3, -1, v3
	v_add_nc_u32_e32 v1, 32, v1
	v_min_u32_e32 v1, v3, v1
	v_lshlrev_b64 v[12:13], v1, v[12:13]
	v_sub_nc_u32_e32 v1, 32, v1
	v_min_u32_e32 v3, 1, v12
	v_or_b32_e32 v3, v13, v3
	v_cvt_f32_i32_e32 v3, v3
	v_ldexp_f32 v1, v3, v1
	s_branch .LBB22_1468
.LBB22_1465:
	s_mov_b32 s1, -1
                                        ; implicit-def: $vgpr1
	s_branch .LBB22_1474
.LBB22_1466:
	s_mov_b32 s1, -1
                                        ; implicit-def: $vgpr1
	s_branch .LBB22_1471
.LBB22_1467:
	s_mov_b32 s1, -1
                                        ; implicit-def: $vgpr1
.LBB22_1468:
	s_andn2_b32 vcc_lo, exec_lo, s1
	s_cbranch_vccnz .LBB22_1470
; %bb.1469:
	global_load_dword v1, v[10:11], off
	s_waitcnt vmcnt(0)
	v_cvt_f32_i32_e32 v1, v1
.LBB22_1470:
	s_mov_b32 s1, 0
.LBB22_1471:
	s_andn2_b32 vcc_lo, exec_lo, s1
	s_cbranch_vccnz .LBB22_1473
; %bb.1472:
	global_load_sshort v1, v[10:11], off
	s_waitcnt vmcnt(0)
	v_cvt_f32_i32_e32 v1, v1
.LBB22_1473:
	s_mov_b32 s1, 0
.LBB22_1474:
	s_andn2_b32 vcc_lo, exec_lo, s1
	s_cbranch_vccnz .LBB22_1480
; %bb.1475:
	s_cmp_gt_i32 s0, 0
	s_mov_b32 s0, 0
	s_cbranch_scc0 .LBB22_1477
; %bb.1476:
	global_load_sbyte v1, v[10:11], off
	s_waitcnt vmcnt(0)
	v_cvt_f32_i32_e32 v1, v1
	s_branch .LBB22_1478
.LBB22_1477:
	s_mov_b32 s0, -1
                                        ; implicit-def: $vgpr1
.LBB22_1478:
	s_andn2_b32 vcc_lo, exec_lo, s0
	s_cbranch_vccnz .LBB22_1480
; %bb.1479:
	global_load_ubyte v1, v[10:11], off
	s_waitcnt vmcnt(0)
	v_cvt_f32_ubyte0_e32 v1, v1
.LBB22_1480:
.LBB22_1481:
                                        ; implicit-def: $vgpr3
	s_mov_b32 s0, exec_lo
	s_waitcnt vmcnt(0)
	v_cmpx_ge_f32_e32 0x40a00000, v1
	s_xor_b32 s6, exec_lo, s0
	s_cbranch_execz .LBB22_1487
; %bb.1482:
	v_mov_b32_e32 v3, 0xff800000
	s_mov_b32 s7, exec_lo
	v_cmpx_neq_f32_e32 0, v1
	s_cbranch_execz .LBB22_1486
; %bb.1483:
	v_mov_b32_e32 v3, 0x7fc00000
	s_mov_b32 s14, exec_lo
	v_cmpx_nge_f32_e32 0, v1
	s_cbranch_execz .LBB22_1485
; %bb.1484:
	v_mul_f32_e32 v3, v1, v1
	v_cmp_gt_f32_e64 s0, 0x800000, v1
	v_div_scale_f32 v17, null, v1, v1, -1.0
	v_div_scale_f32 v26, s2, -1.0, v1, -1.0
	v_fmaak_f32 v8, 0, v3, 0x4414934d
	v_fmaak_f32 v10, 0, v3, 0x441b3589
	;; [unrolled: 1-line block ×4, first 2 shown]
	v_cndmask_b32_e64 v16, 0, 32, s0
	v_fmaak_f32 v8, v3, v8, 0x48660b06
	v_fmaak_f32 v10, v3, v10, 0x487af6d0
	;; [unrolled: 1-line block ×4, first 2 shown]
	v_rcp_f32_e32 v18, v17
	v_fmaak_f32 v8, v3, v8, 0x4c8c277d
	v_fmaak_f32 v10, v3, v10, 0x4c9f4aa7
	v_fmaak_f32 v11, v3, v11, 0x56d04aa6
	v_fmaak_f32 v12, v3, v12, 0xd6845497
	v_ldexp_f32 v16, v1, v16
	v_fmaak_f32 v8, v3, v8, 0x508bc61d
	v_fmaak_f32 v10, v3, v10, 0x50a509fc
	;; [unrolled: 1-line block ×4, first 2 shown]
	v_log_f32_e32 v16, v16
	v_fmaak_f32 v8, v3, v8, 0x5461faf8
	v_fmaak_f32 v10, v3, v10, 0x548a37dc
	;; [unrolled: 1-line block ×3, first 2 shown]
	v_fma_f32 v23, -v17, v18, 1.0
	v_fmaak_f32 v8, v3, v8, 0x580d1937
	v_fmaak_f32 v10, v3, v10, 0x58325852
	;; [unrolled: 1-line block ×3, first 2 shown]
	v_fmac_f32_e32 v18, v23, v18
	v_mul_f32_e32 v27, 0x3f317217, v16
	v_fmaak_f32 v8, v3, v8, 0x5b741f1e
	v_fmaak_f32 v10, v3, v10, 0x5b9f0600
	v_fma_f32 v23, 0x3f317217, v16, -v27
	v_fmaak_f32 v8, v3, v8, 0x5e5c878d
	v_fmaak_f32 v3, v3, v10, 0x5e93bcac
	v_div_scale_f32 v10, null, v8, v8, v11
	v_div_scale_f32 v13, null, v3, v3, v12
	v_div_scale_f32 v21, vcc_lo, v11, v8, v11
	v_rcp_f32_e32 v14, v10
	v_rcp_f32_e32 v15, v13
	v_div_scale_f32 v22, s1, v12, v3, v12
	v_fma_f32 v19, -v10, v14, 1.0
	v_fma_f32 v20, -v13, v15, 1.0
	v_fmac_f32_e32 v14, v19, v14
	v_fmac_f32_e32 v15, v20, v15
	v_mul_f32_e32 v19, v21, v14
	v_mul_f32_e32 v20, v22, v15
	v_fma_f32 v24, -v10, v19, v21
	v_fma_f32 v25, -v13, v20, v22
	v_fmac_f32_e32 v19, v24, v14
	v_fmac_f32_e32 v20, v25, v15
	v_fma_f32 v10, -v10, v19, v21
	v_mul_f32_e32 v21, v26, v18
	v_fma_f32 v13, -v13, v20, v22
	v_div_fmas_f32 v10, v10, v14, v19
	s_mov_b32 vcc_lo, s1
	v_fma_f32 v14, -v17, v21, v26
	v_div_fmas_f32 v13, v13, v15, v20
	v_fmamk_f32 v15, v16, 0x3377d1cf, v23
	v_cmp_gt_f32_e64 vcc_lo, 0x7f800000, |v16|
	v_div_fixup_f32 v8, v10, v8, v11
	v_fmac_f32_e32 v21, v14, v18
	v_div_fixup_f32 v3, v13, v3, v12
	v_fmac_f32_e32 v15, 0x3f317217, v16
	v_fmaak_f32 v12, v1, v1, 0xc16ae95a
	v_fmaak_f32 v13, v1, v1, 0xc244dfb3
	v_fma_f32 v17, -v17, v21, v26
	v_mul_f32_e32 v3, v1, v3
	v_cndmask_b32_e32 v15, v16, v15, vcc_lo
	s_mov_b32 vcc_lo, s2
	v_cndmask_b32_e64 v14, 0, 0x41b17218, s0
	v_mul_f32_e32 v3, v12, v3
	v_div_fmas_f32 v12, v17, v18, v21
	v_sub_f32_e32 v14, v15, v14
	v_mul_f32_e32 v3, v13, v3
	v_div_fixup_f32 v12, v12, v1, -1.0
	v_fmac_f32_e32 v12, v14, v3
	v_mul_f32_e32 v3, 0x3f22f983, v12
	v_fmac_f32_e32 v3, v1, v8
.LBB22_1485:
	s_or_b32 exec_lo, exec_lo, s14
.LBB22_1486:
	s_or_b32 exec_lo, exec_lo, s7
                                        ; implicit-def: $vgpr1
.LBB22_1487:
	s_andn2_saveexec_b32 s6, s6
	s_cbranch_execz .LBB22_1497
; %bb.1488:
	v_add_f32_e32 v3, 0xc016cbe4, v1
                                        ; implicit-def: $vgpr11
                                        ; implicit-def: $vgpr10
	v_and_b32_e32 v8, 0x7fffffff, v3
	v_cmp_ngt_f32_e64 s2, 0x48000000, |v3|
	s_and_saveexec_b32 s0, s2
	s_xor_b32 s7, exec_lo, s0
	s_cbranch_execz .LBB22_1490
; %bb.1489:
	s_mov_b32 s0, 0x7fffff
	v_mov_b32_e32 v12, 0
	v_and_or_b32 v19, v8, s0, 0x800000
	v_lshrrev_b32_e32 v17, 23, v8
	v_mad_u64_u32 v[10:11], null, 0xfe5163ab, v19, 0
	v_add_nc_u32_e32 v18, 0xffffff88, v17
	v_cmp_lt_u32_e32 vcc_lo, 63, v18
	v_mad_u64_u32 v[13:14], null, 0x3c439041, v19, v[11:12]
	v_cndmask_b32_e64 v20, 0, 0xffffffc0, vcc_lo
	v_mov_b32_e32 v11, v14
	v_add_nc_u32_e32 v20, v20, v18
	v_mad_u64_u32 v[14:15], null, 0xdb629599, v19, v[11:12]
	v_cmp_lt_u32_e64 s0, 31, v20
	v_cndmask_b32_e64 v21, 0, 0xffffffe0, s0
	v_mov_b32_e32 v11, v15
	v_cndmask_b32_e32 v10, v14, v10, vcc_lo
	v_mad_u64_u32 v[15:16], null, 0xf534ddc0, v19, v[11:12]
	v_mov_b32_e32 v11, v16
	v_cndmask_b32_e32 v13, v15, v13, vcc_lo
	v_mad_u64_u32 v[16:17], null, 0xfc2757d1, v19, v[11:12]
	v_cndmask_b32_e64 v10, v13, v10, s0
	v_mov_b32_e32 v11, v17
	v_mad_u64_u32 v[17:18], null, 0x4e441529, v19, v[11:12]
	v_mov_b32_e32 v11, v18
	v_add_nc_u32_e32 v18, v21, v20
	v_cndmask_b32_e32 v20, v17, v15, vcc_lo
	v_mad_u64_u32 v[11:12], null, 0xa2f9836e, v19, v[11:12]
	v_cmp_lt_u32_e64 s1, 31, v18
	v_cndmask_b32_e64 v19, 0, 0xffffffe0, s1
	v_cndmask_b32_e32 v11, v11, v16, vcc_lo
	v_cndmask_b32_e32 v12, v12, v17, vcc_lo
	v_cndmask_b32_e32 v16, v16, v14, vcc_lo
	v_add_nc_u32_e32 v17, v19, v18
	v_cndmask_b32_e64 v15, v11, v20, s0
	v_cndmask_b32_e64 v11, v12, v11, s0
	;; [unrolled: 1-line block ×4, first 2 shown]
	v_sub_nc_u32_e32 v18, 32, v17
	v_cmp_eq_u32_e32 vcc_lo, 0, v17
	v_cndmask_b32_e64 v11, v11, v15, s1
	v_cndmask_b32_e64 v15, v15, v12, s1
	;; [unrolled: 1-line block ×4, first 2 shown]
	v_alignbit_b32 v19, v11, v15, v18
	v_alignbit_b32 v14, v15, v12, v18
	;; [unrolled: 1-line block ×3, first 2 shown]
	v_cndmask_b32_e32 v11, v19, v11, vcc_lo
	v_cndmask_b32_e32 v13, v14, v15, vcc_lo
	;; [unrolled: 1-line block ×3, first 2 shown]
	v_bfe_u32 v14, v11, 29, 1
	v_alignbit_b32 v15, v11, v13, 30
	v_alignbit_b32 v13, v13, v12, 30
	;; [unrolled: 1-line block ×3, first 2 shown]
	v_sub_nc_u32_e32 v16, 0, v14
	v_xor_b32_e32 v15, v15, v16
	v_xor_b32_e32 v12, v13, v16
	;; [unrolled: 1-line block ×3, first 2 shown]
	v_lshrrev_b32_e32 v16, 29, v11
	v_lshrrev_b32_e32 v11, 30, v11
	v_ffbh_u32_e32 v17, v15
	v_add_nc_u32_e32 v11, v14, v11
	v_min_u32_e32 v17, 32, v17
	v_sub_nc_u32_e32 v13, 31, v17
	v_lshlrev_b32_e32 v18, 23, v17
	v_alignbit_b32 v15, v15, v12, v13
	v_alignbit_b32 v10, v12, v10, v13
	v_lshlrev_b32_e32 v12, 31, v16
	v_alignbit_b32 v13, v15, v10, 9
	v_or_b32_e32 v16, 0.5, v12
	v_lshrrev_b32_e32 v15, 9, v15
	v_or_b32_e32 v12, 0x33000000, v12
	v_ffbh_u32_e32 v19, v13
	v_sub_nc_u32_e32 v16, v16, v18
	v_min_u32_e32 v18, 32, v19
	v_or_b32_e32 v15, v15, v16
	v_not_b32_e32 v16, v18
	v_mul_f32_e32 v19, 0x3fc90fda, v15
	v_add_lshl_u32 v17, v18, v17, 23
	v_alignbit_b32 v10, v13, v10, v16
	v_fma_f32 v13, 0x3fc90fda, v15, -v19
	v_sub_nc_u32_e32 v12, v12, v17
	v_lshrrev_b32_e32 v10, 9, v10
	v_fmamk_f32 v13, v15, 0x33a22168, v13
	v_or_b32_e32 v10, v12, v10
	v_fmac_f32_e32 v13, 0x3fc90fda, v10
	v_add_f32_e32 v10, v19, v13
	s_andn2_saveexec_b32 s0, s7
	s_branch .LBB22_1491
.LBB22_1490:
	s_andn2_saveexec_b32 s0, s7
.LBB22_1491:
	v_mul_f32_e64 v10, 0x3f22f983, |v3|
	v_rndne_f32_e32 v11, v10
	v_fma_f32 v10, 0xbfc90fda, v11, |v3|
	v_fmamk_f32 v10, v11, 0xb3a22168, v10
	v_fmamk_f32 v10, v11, 0xa7c234c4, v10
	v_cvt_i32_f32_e32 v11, v11
; %bb.1492:
	s_or_b32 exec_lo, exec_lo, s0
                                        ; implicit-def: $vgpr13
                                        ; implicit-def: $vgpr12
	s_and_saveexec_b32 s0, s2
	s_xor_b32 s2, exec_lo, s0
	s_cbranch_execz .LBB22_1494
; %bb.1493:
	s_mov_b32 s0, 0x7fffff
	v_mov_b32_e32 v14, 0
	v_and_or_b32 v21, v8, s0, 0x800000
	v_lshrrev_b32_e32 v19, 23, v8
	v_mad_u64_u32 v[12:13], null, 0xfe5163ab, v21, 0
	v_add_nc_u32_e32 v20, 0xffffff88, v19
	v_cmp_lt_u32_e32 vcc_lo, 63, v20
	v_mad_u64_u32 v[15:16], null, 0x3c439041, v21, v[13:14]
	v_cndmask_b32_e64 v22, 0, 0xffffffc0, vcc_lo
	v_mov_b32_e32 v13, v16
	v_add_nc_u32_e32 v22, v22, v20
	v_mad_u64_u32 v[16:17], null, 0xdb629599, v21, v[13:14]
	v_cmp_lt_u32_e64 s0, 31, v22
	v_cndmask_b32_e64 v23, 0, 0xffffffe0, s0
	v_mov_b32_e32 v13, v17
	v_cndmask_b32_e32 v12, v16, v12, vcc_lo
	v_mad_u64_u32 v[17:18], null, 0xf534ddc0, v21, v[13:14]
	v_mov_b32_e32 v13, v18
	v_cndmask_b32_e32 v15, v17, v15, vcc_lo
	v_mad_u64_u32 v[18:19], null, 0xfc2757d1, v21, v[13:14]
	v_cndmask_b32_e64 v12, v15, v12, s0
	v_mov_b32_e32 v13, v19
	v_mad_u64_u32 v[19:20], null, 0x4e441529, v21, v[13:14]
	v_mov_b32_e32 v13, v20
	v_add_nc_u32_e32 v20, v23, v22
	v_cndmask_b32_e32 v22, v19, v17, vcc_lo
	v_mad_u64_u32 v[13:14], null, 0xa2f9836e, v21, v[13:14]
	v_cmp_lt_u32_e64 s1, 31, v20
	v_cndmask_b32_e64 v21, 0, 0xffffffe0, s1
	v_cndmask_b32_e32 v13, v13, v18, vcc_lo
	v_cndmask_b32_e32 v14, v14, v19, vcc_lo
	;; [unrolled: 1-line block ×3, first 2 shown]
	v_add_nc_u32_e32 v19, v21, v20
	v_cndmask_b32_e64 v17, v13, v22, s0
	v_cndmask_b32_e64 v13, v14, v13, s0
	;; [unrolled: 1-line block ×4, first 2 shown]
	v_sub_nc_u32_e32 v20, 32, v19
	v_cmp_eq_u32_e32 vcc_lo, 0, v19
	v_cndmask_b32_e64 v13, v13, v17, s1
	v_cndmask_b32_e64 v17, v17, v14, s1
	;; [unrolled: 1-line block ×4, first 2 shown]
	v_alignbit_b32 v21, v13, v17, v20
	v_alignbit_b32 v16, v17, v14, v20
	;; [unrolled: 1-line block ×3, first 2 shown]
	v_cndmask_b32_e32 v13, v21, v13, vcc_lo
	v_cndmask_b32_e32 v15, v16, v17, vcc_lo
	;; [unrolled: 1-line block ×3, first 2 shown]
	v_bfe_u32 v16, v13, 29, 1
	v_alignbit_b32 v17, v13, v15, 30
	v_alignbit_b32 v15, v15, v14, 30
	;; [unrolled: 1-line block ×3, first 2 shown]
	v_sub_nc_u32_e32 v18, 0, v16
	v_xor_b32_e32 v17, v17, v18
	v_xor_b32_e32 v14, v15, v18
	;; [unrolled: 1-line block ×3, first 2 shown]
	v_lshrrev_b32_e32 v18, 29, v13
	v_lshrrev_b32_e32 v13, 30, v13
	v_ffbh_u32_e32 v19, v17
	v_add_nc_u32_e32 v13, v16, v13
	v_min_u32_e32 v19, 32, v19
	v_sub_nc_u32_e32 v15, 31, v19
	v_lshlrev_b32_e32 v20, 23, v19
	v_alignbit_b32 v17, v17, v14, v15
	v_alignbit_b32 v12, v14, v12, v15
	v_lshlrev_b32_e32 v14, 31, v18
	v_alignbit_b32 v15, v17, v12, 9
	v_or_b32_e32 v18, 0.5, v14
	v_lshrrev_b32_e32 v17, 9, v17
	v_or_b32_e32 v14, 0x33000000, v14
	v_ffbh_u32_e32 v21, v15
	v_sub_nc_u32_e32 v18, v18, v20
	v_min_u32_e32 v20, 32, v21
	v_or_b32_e32 v17, v17, v18
	v_not_b32_e32 v18, v20
	v_mul_f32_e32 v21, 0x3fc90fda, v17
	v_add_lshl_u32 v19, v20, v19, 23
	v_alignbit_b32 v12, v15, v12, v18
	v_fma_f32 v15, 0x3fc90fda, v17, -v21
	v_sub_nc_u32_e32 v14, v14, v19
	v_lshrrev_b32_e32 v12, 9, v12
	v_fmamk_f32 v15, v17, 0x33a22168, v15
	v_or_b32_e32 v12, v14, v12
	v_fmac_f32_e32 v15, 0x3fc90fda, v12
	v_add_f32_e32 v12, v21, v15
	s_andn2_saveexec_b32 s0, s2
	s_cbranch_execnz .LBB22_1495
	s_branch .LBB22_1496
.LBB22_1494:
	s_andn2_saveexec_b32 s0, s2
.LBB22_1495:
	v_mul_f32_e64 v12, 0x3f22f983, |v3|
	v_rndne_f32_e32 v13, v12
	v_fma_f32 v12, 0xbfc90fda, v13, |v3|
	v_fmamk_f32 v12, v13, 0xb3a22168, v12
	v_fmamk_f32 v12, v13, 0xa7c234c4, v12
	v_cvt_i32_f32_e32 v13, v13
.LBB22_1496:
	s_or_b32 exec_lo, exec_lo, s0
	v_div_scale_f32 v14, null, v1, v1, 0x40a00000
	v_div_scale_f32 v17, vcc_lo, 0x40a00000, v1, 0x40a00000
	s_mov_b32 s0, 0xb94c1982
	v_rcp_f32_e32 v15, v14
	v_mul_f32_e32 v24, 0x4f800000, v1
	s_mov_b32 s1, 0x37d75334
	v_and_b32_e32 v19, 1, v13
	v_xor_b32_e32 v8, v8, v3
	v_lshlrev_b32_e32 v13, 30, v13
	v_and_b32_e32 v13, 0x80000000, v13
	v_fma_f32 v16, -v14, v15, 1.0
	v_fmac_f32_e32 v15, v16, v15
	v_mul_f32_e32 v16, v17, v15
	v_fma_f32 v18, -v14, v16, v17
	v_fmac_f32_e32 v16, v18, v15
	v_mul_f32_e32 v18, v12, v12
	v_fma_f32 v14, -v14, v16, v17
	v_fmaak_f32 v27, s0, v18, 0x3c0881c4
	v_fmaak_f32 v28, s1, v18, 0xbab64f3b
	v_div_fmas_f32 v14, v14, v15, v16
	v_mul_f32_e32 v15, v10, v10
	v_fmaak_f32 v28, v18, v28, 0x3d2aabf7
	v_and_b32_e32 v16, 1, v11
	v_fmaak_f32 v27, v18, v27, 0xbe2aaa9d
	v_div_fixup_f32 v14, v14, v1, 0x40a00000
	v_fmaak_f32 v25, s0, v15, 0x3c0881c4
	v_cmp_gt_f32_e64 s0, 0xf800000, v1
	v_fmaak_f32 v26, s1, v15, 0xbab64f3b
	v_fmaak_f32 v28, v18, v28, 0xbf000004
	v_mul_f32_e32 v17, v14, v14
	v_fmaak_f32 v25, v15, v25, 0xbe2aaa9d
	v_cndmask_b32_e64 v1, v1, v24, s0
	v_fmaak_f32 v26, v15, v26, 0x3d2aabf7
	v_mul_f32_e32 v27, v18, v27
	v_fmaak_f32 v20, 0, v17, 0x3d513fd3
	v_fmaak_f32 v21, 0, v17, 0x3a15c4d9
	;; [unrolled: 1-line block ×4, first 2 shown]
	v_mul_f32_e32 v25, v15, v25
	v_fmaak_f32 v20, v17, v20, 0x409f6dae
	v_fmaak_f32 v21, v17, v21, 0x3d8cfeeb
	;; [unrolled: 1-line block ×9, first 2 shown]
	v_fmac_f32_e32 v10, v10, v25
	v_fmaak_f32 v20, v17, v20, 0x43b763ca
	v_fmaak_f32 v21, v17, v21, 0x40a25d18
	;; [unrolled: 1-line block ×4, first 2 shown]
	v_sqrt_f32_e32 v31, v1
	v_fmaak_f32 v20, v17, v20, 0x4431b6ce
	v_fmaak_f32 v21, v17, v21, 0x410665cf
	;; [unrolled: 1-line block ×4, first 2 shown]
	v_fma_f32 v15, v15, v26, 1.0
	v_fmaak_f32 v20, v17, v20, 0x44155f56
	v_fmaak_f32 v21, v17, v21, 0x40a6b6ea
	;; [unrolled: 1-line block ×4, first 2 shown]
	v_fma_f32 v18, v18, v28, 1.0
	v_fmaak_f32 v20, v17, v20, 0x4353b052
	v_fma_f32 v21, v17, v21, 1.0
	v_fma_f32 v22, v17, v22, 1.0
	v_fmaak_f32 v23, v17, v23, 0x43a80bfb
	v_cmp_eq_u32_e64 s2, 0, v16
	v_fmaak_f32 v17, v17, v20, 0x41c9a7fa
	v_lshlrev_b32_e32 v11, 30, v11
	v_div_scale_f32 v20, null, v21, v21, v22
	v_div_scale_f32 v34, vcc_lo, v22, v21, v22
	v_div_scale_f32 v29, null, v23, v23, v17
	v_rcp_f32_e32 v24, v20
	v_fmac_f32_e32 v12, v12, v27
	v_cndmask_b32_e64 v10, v15, v10, s2
	v_rcp_f32_e32 v30, v29
	v_cmp_eq_u32_e64 s2, 0, v19
	v_and_b32_e32 v11, 0x80000000, v11
	v_add_nc_u32_e32 v27, -1, v31
	v_cndmask_b32_e64 v12, -v12, v18, s2
	v_fma_f32 v32, -v20, v24, 1.0
	v_fma_f32 v15, -v27, v31, v1
	v_xor3_b32 v8, v8, v11, v10
	v_fma_f32 v33, -v29, v30, 1.0
	v_xor_b32_e32 v12, v13, v12
	v_fmac_f32_e32 v24, v32, v24
	v_div_scale_f32 v32, s1, v17, v23, v17
	v_fmac_f32_e32 v30, v33, v30
	v_add_nc_u32_e32 v33, 1, v31
	v_mul_f32_e32 v25, v34, v24
	v_mul_f32_e32 v26, v32, v30
	v_fma_f32 v16, -v33, v31, v1
	v_fma_f32 v28, -v20, v25, v34
	;; [unrolled: 1-line block ×3, first 2 shown]
	v_fmac_f32_e32 v25, v28, v24
	v_fmac_f32_e32 v26, v35, v30
	v_fma_f32 v18, -v20, v25, v34
	v_fma_f32 v10, -v29, v26, v32
	v_div_fmas_f32 v11, v18, v24, v25
	s_mov_b32 vcc_lo, s1
	v_cmp_ge_f32_e64 s1, 0, v15
	v_div_fmas_f32 v10, v10, v30, v26
	v_cmp_class_f32_e64 vcc_lo, v3, 0x1f8
	v_div_fixup_f32 v11, v11, v21, v22
	v_cndmask_b32_e64 v3, v31, v27, s1
	v_div_fixup_f32 v10, v10, v23, v17
	v_cmp_lt_f32_e64 s1, 0, v16
	v_cndmask_b32_e32 v12, 0x7fc00000, v12, vcc_lo
	v_cndmask_b32_e32 v8, 0x7fc00000, v8, vcc_lo
	v_cmp_class_f32_e64 vcc_lo, v1, 0x260
	v_mul_f32_e32 v10, v14, v10
	v_cndmask_b32_e64 v3, v3, v33, s1
	v_mul_f32_e32 v10, v10, v12
	v_mul_f32_e32 v13, 0x37800000, v3
	v_fmac_f32_e32 v10, v11, v8
	v_cndmask_b32_e64 v3, v3, v13, s0
	v_cndmask_b32_e32 v1, v3, v1, vcc_lo
	v_mul_f32_e32 v3, 0x3f4c422a, v10
	v_div_scale_f32 v8, null, v1, v1, v3
	v_rcp_f32_e32 v10, v8
	v_fma_f32 v11, -v8, v10, 1.0
	v_fmac_f32_e32 v10, v11, v10
	v_div_scale_f32 v11, vcc_lo, v3, v1, v3
	v_mul_f32_e32 v12, v11, v10
	v_fma_f32 v13, -v8, v12, v11
	v_fmac_f32_e32 v12, v13, v10
	v_fma_f32 v8, -v8, v12, v11
	v_div_fmas_f32 v8, v8, v10, v12
	v_div_fixup_f32 v3, v8, v1, v3
.LBB22_1497:
	s_or_b32 exec_lo, exec_lo, s6
	v_add_co_u32 v8, s0, s10, v9
	v_add_co_ci_u32_e64 v9, null, s11, 0, s0
	s_cmp_lt_i32 s5, 11
	s_cbranch_scc1 .LBB22_1504
; %bb.1498:
	s_and_b32 s0, 0xffff, s5
	s_mov_b32 s2, 0
	s_cmp_gt_i32 s0, 25
	s_cbranch_scc0 .LBB22_1506
; %bb.1499:
	s_cmp_gt_i32 s0, 28
	s_cbranch_scc0 .LBB22_1507
; %bb.1500:
	;; [unrolled: 3-line block ×4, first 2 shown]
	s_cmp_eq_u32 s0, 46
	s_mov_b32 s7, 0
	s_cbranch_scc0 .LBB22_1511
; %bb.1503:
	global_load_dword v1, v[8:9], off
	s_mov_b32 s1, 0
	s_mov_b32 s6, -1
	s_waitcnt vmcnt(0)
	v_lshlrev_b32_e32 v10, 16, v1
	s_branch .LBB22_1513
.LBB22_1504:
	s_mov_b32 s6, 0
                                        ; implicit-def: $vgpr10
	s_cbranch_execnz .LBB22_1579
.LBB22_1505:
	s_andn2_b32 vcc_lo, exec_lo, s6
	s_cbranch_vccnz .LBB22_1783
	s_branch .LBB22_1627
.LBB22_1506:
	s_mov_b32 s7, -1
	s_mov_b32 s6, 0
	s_mov_b32 s1, 0
                                        ; implicit-def: $vgpr10
	s_branch .LBB22_1542
.LBB22_1507:
	s_mov_b32 s7, -1
	s_mov_b32 s6, 0
	s_mov_b32 s1, 0
                                        ; implicit-def: $vgpr10
	s_branch .LBB22_1523
.LBB22_1508:
	s_mov_b32 s7, -1
	s_mov_b32 s6, 0
	s_mov_b32 s1, 0
                                        ; implicit-def: $vgpr10
	s_branch .LBB22_1518
.LBB22_1509:
	s_or_b32 s3, s3, exec_lo
	s_trap 2
	s_cbranch_execz .LBB22_1432
	s_branch .LBB22_1433
.LBB22_1510:
	s_mov_b32 s7, -1
	s_mov_b32 s6, 0
	s_mov_b32 s1, 0
	s_branch .LBB22_1512
.LBB22_1511:
	s_mov_b32 s1, -1
	s_mov_b32 s6, 0
.LBB22_1512:
                                        ; implicit-def: $vgpr10
.LBB22_1513:
	s_and_b32 vcc_lo, exec_lo, s7
	s_cbranch_vccz .LBB22_1517
; %bb.1514:
	s_cmp_eq_u32 s0, 44
	s_cbranch_scc0 .LBB22_1516
; %bb.1515:
	global_load_ubyte v1, v[8:9], off
	s_mov_b32 s1, 0
	s_mov_b32 s6, -1
	s_waitcnt vmcnt(0)
	v_lshlrev_b32_e32 v10, 23, v1
	v_cmp_ne_u32_e32 vcc_lo, 0xff, v1
	v_cndmask_b32_e32 v10, 0x7f800001, v10, vcc_lo
	v_cmp_ne_u32_e32 vcc_lo, 0, v1
	v_cndmask_b32_e32 v10, 0x400000, v10, vcc_lo
	s_branch .LBB22_1517
.LBB22_1516:
	s_mov_b32 s1, -1
                                        ; implicit-def: $vgpr10
.LBB22_1517:
	s_mov_b32 s7, 0
.LBB22_1518:
	s_and_b32 vcc_lo, exec_lo, s7
	s_cbranch_vccz .LBB22_1522
; %bb.1519:
	s_cmp_eq_u32 s0, 29
	s_cbranch_scc0 .LBB22_1521
; %bb.1520:
	global_load_dwordx2 v[10:11], v[8:9], off
	s_mov_b32 s1, 0
	s_mov_b32 s6, -1
	s_mov_b32 s7, 0
	s_waitcnt vmcnt(0)
	v_ffbh_u32_e32 v1, v11
	v_min_u32_e32 v1, 32, v1
	v_lshlrev_b64 v[10:11], v1, v[10:11]
	v_sub_nc_u32_e32 v1, 32, v1
	v_min_u32_e32 v10, 1, v10
	v_or_b32_e32 v10, v11, v10
	v_cvt_f32_u32_e32 v10, v10
	v_ldexp_f32 v10, v10, v1
	s_branch .LBB22_1523
.LBB22_1521:
	s_mov_b32 s1, -1
                                        ; implicit-def: $vgpr10
.LBB22_1522:
	s_mov_b32 s7, 0
.LBB22_1523:
	s_and_b32 vcc_lo, exec_lo, s7
	s_cbranch_vccz .LBB22_1541
; %bb.1524:
	s_cmp_lt_i32 s0, 27
	s_cbranch_scc1 .LBB22_1527
; %bb.1525:
	s_cmp_gt_i32 s0, 27
	s_cbranch_scc0 .LBB22_1528
; %bb.1526:
	global_load_dword v1, v[8:9], off
	s_mov_b32 s6, 0
	s_waitcnt vmcnt(0)
	v_cvt_f32_u32_e32 v10, v1
	s_branch .LBB22_1529
.LBB22_1527:
	s_mov_b32 s6, -1
                                        ; implicit-def: $vgpr10
	s_branch .LBB22_1532
.LBB22_1528:
	s_mov_b32 s6, -1
                                        ; implicit-def: $vgpr10
.LBB22_1529:
	s_andn2_b32 vcc_lo, exec_lo, s6
	s_cbranch_vccnz .LBB22_1531
; %bb.1530:
	global_load_ushort v1, v[8:9], off
	s_waitcnt vmcnt(0)
	v_cvt_f32_u32_e32 v10, v1
.LBB22_1531:
	s_mov_b32 s6, 0
.LBB22_1532:
	s_andn2_b32 vcc_lo, exec_lo, s6
	s_cbranch_vccnz .LBB22_1540
; %bb.1533:
	global_load_ubyte v1, v[8:9], off
	s_mov_b32 s6, 0
	s_mov_b32 s7, exec_lo
	s_waitcnt vmcnt(0)
	v_cmpx_lt_i16_e32 0x7f, v1
	s_xor_b32 s7, exec_lo, s7
	s_cbranch_execz .LBB22_1554
; %bb.1534:
	s_mov_b32 s6, -1
	s_mov_b32 s14, exec_lo
	v_cmpx_eq_u16_e32 0x80, v1
; %bb.1535:
	s_xor_b32 s6, exec_lo, -1
; %bb.1536:
	s_or_b32 exec_lo, exec_lo, s14
	s_and_b32 s6, s6, exec_lo
	s_or_saveexec_b32 s7, s7
	v_mov_b32_e32 v10, 0x7f800001
	s_xor_b32 exec_lo, exec_lo, s7
	s_cbranch_execnz .LBB22_1555
.LBB22_1537:
	s_or_b32 exec_lo, exec_lo, s7
	s_and_saveexec_b32 s7, s6
	s_cbranch_execz .LBB22_1539
.LBB22_1538:
	v_and_b32_e32 v10, 0xffff, v1
	v_lshlrev_b32_e32 v1, 24, v1
	v_and_b32_e32 v11, 7, v10
	v_bfe_u32 v14, v10, 3, 4
	v_and_b32_e32 v1, 0x80000000, v1
	v_ffbh_u32_e32 v12, v11
	v_cmp_eq_u32_e32 vcc_lo, 0, v14
	v_min_u32_e32 v12, 32, v12
	v_subrev_nc_u32_e32 v13, 28, v12
	v_sub_nc_u32_e32 v12, 29, v12
	v_lshlrev_b32_e32 v10, v13, v10
	v_cndmask_b32_e32 v12, v14, v12, vcc_lo
	v_and_b32_e32 v10, 7, v10
	v_cndmask_b32_e32 v10, v11, v10, vcc_lo
	v_lshl_add_u32 v11, v12, 23, 0x3b800000
	v_lshlrev_b32_e32 v10, 20, v10
	v_or3_b32 v10, v1, v11, v10
.LBB22_1539:
	s_or_b32 exec_lo, exec_lo, s7
.LBB22_1540:
	s_mov_b32 s6, -1
.LBB22_1541:
	s_mov_b32 s7, 0
.LBB22_1542:
	s_and_b32 vcc_lo, exec_lo, s7
	s_cbranch_vccz .LBB22_1575
; %bb.1543:
	s_cmp_gt_i32 s0, 22
	s_cbranch_scc0 .LBB22_1553
; %bb.1544:
	s_cmp_lt_i32 s0, 24
	s_cbranch_scc1 .LBB22_1556
; %bb.1545:
	s_cmp_gt_i32 s0, 24
	s_cbranch_scc0 .LBB22_1557
; %bb.1546:
	global_load_ubyte v1, v[8:9], off
	s_mov_b32 s6, exec_lo
	s_waitcnt vmcnt(0)
	v_cmpx_lt_i16_e32 0x7f, v1
	s_xor_b32 s6, exec_lo, s6
	s_cbranch_execz .LBB22_1569
; %bb.1547:
	s_mov_b32 s2, -1
	s_mov_b32 s7, exec_lo
	v_cmpx_eq_u16_e32 0x80, v1
; %bb.1548:
	s_xor_b32 s2, exec_lo, -1
; %bb.1549:
	s_or_b32 exec_lo, exec_lo, s7
	s_and_b32 s2, s2, exec_lo
	s_or_saveexec_b32 s6, s6
	v_mov_b32_e32 v10, 0x7f800001
	s_xor_b32 exec_lo, exec_lo, s6
	s_cbranch_execnz .LBB22_1570
.LBB22_1550:
	s_or_b32 exec_lo, exec_lo, s6
	s_and_saveexec_b32 s6, s2
	s_cbranch_execz .LBB22_1552
.LBB22_1551:
	v_and_b32_e32 v10, 0xffff, v1
	v_lshlrev_b32_e32 v1, 24, v1
	v_and_b32_e32 v11, 3, v10
	v_bfe_u32 v14, v10, 2, 5
	v_and_b32_e32 v1, 0x80000000, v1
	v_ffbh_u32_e32 v12, v11
	v_cmp_eq_u32_e32 vcc_lo, 0, v14
	v_min_u32_e32 v12, 32, v12
	v_subrev_nc_u32_e32 v13, 29, v12
	v_sub_nc_u32_e32 v12, 30, v12
	v_lshlrev_b32_e32 v10, v13, v10
	v_cndmask_b32_e32 v12, v14, v12, vcc_lo
	v_and_b32_e32 v10, 3, v10
	v_cndmask_b32_e32 v10, v11, v10, vcc_lo
	v_lshl_add_u32 v11, v12, 23, 0x37800000
	v_lshlrev_b32_e32 v10, 21, v10
	v_or3_b32 v10, v1, v11, v10
.LBB22_1552:
	s_or_b32 exec_lo, exec_lo, s6
	s_mov_b32 s2, 0
	s_branch .LBB22_1558
.LBB22_1553:
	s_mov_b32 s2, -1
                                        ; implicit-def: $vgpr10
	s_branch .LBB22_1564
.LBB22_1554:
	s_or_saveexec_b32 s7, s7
	v_mov_b32_e32 v10, 0x7f800001
	s_xor_b32 exec_lo, exec_lo, s7
	s_cbranch_execz .LBB22_1537
.LBB22_1555:
	v_cmp_ne_u16_e32 vcc_lo, 0, v1
	v_mov_b32_e32 v10, 0
	s_andn2_b32 s6, s6, exec_lo
	s_and_b32 s14, vcc_lo, exec_lo
	s_or_b32 s6, s6, s14
	s_or_b32 exec_lo, exec_lo, s7
	s_and_saveexec_b32 s7, s6
	s_cbranch_execnz .LBB22_1538
	s_branch .LBB22_1539
.LBB22_1556:
	s_mov_b32 s2, -1
                                        ; implicit-def: $vgpr10
	s_branch .LBB22_1561
.LBB22_1557:
	s_mov_b32 s2, -1
                                        ; implicit-def: $vgpr10
.LBB22_1558:
	s_and_b32 vcc_lo, exec_lo, s2
	s_cbranch_vccz .LBB22_1560
; %bb.1559:
	global_load_ubyte v1, v[8:9], off
	s_waitcnt vmcnt(0)
	v_lshlrev_b32_e32 v1, 24, v1
	v_and_b32_e32 v10, 0x7f000000, v1
	v_ffbh_u32_e32 v11, v10
	v_add_nc_u32_e32 v13, 0x1000000, v10
	v_cmp_ne_u32_e32 vcc_lo, 0, v10
	v_min_u32_e32 v11, 32, v11
	v_sub_nc_u32_e64 v11, v11, 4 clamp
	v_lshlrev_b32_e32 v12, v11, v10
	v_lshlrev_b32_e32 v11, 23, v11
	v_lshrrev_b32_e32 v12, 4, v12
	v_sub_nc_u32_e32 v11, v12, v11
	v_ashrrev_i32_e32 v12, 8, v13
	v_add_nc_u32_e32 v11, 0x3c000000, v11
	v_and_or_b32 v11, 0x7f800000, v12, v11
	v_cndmask_b32_e32 v10, 0, v11, vcc_lo
	v_and_or_b32 v10, 0x80000000, v1, v10
.LBB22_1560:
	s_mov_b32 s2, 0
.LBB22_1561:
	s_andn2_b32 vcc_lo, exec_lo, s2
	s_cbranch_vccnz .LBB22_1563
; %bb.1562:
	global_load_ubyte v1, v[8:9], off
	s_waitcnt vmcnt(0)
	v_lshlrev_b32_e32 v10, 25, v1
	v_lshlrev_b16 v1, 8, v1
	v_lshrrev_b32_e32 v11, 4, v10
	v_and_or_b32 v12, 0x7f00, v1, 0.5
	v_cmp_gt_u32_e32 vcc_lo, 0x8000000, v10
	v_bfe_i32 v1, v1, 0, 16
	v_or_b32_e32 v11, 0x70000000, v11
	v_add_f32_e32 v12, -0.5, v12
	v_mul_f32_e32 v11, 0x7800000, v11
	v_cndmask_b32_e32 v10, v11, v12, vcc_lo
	v_and_or_b32 v10, 0x80000000, v1, v10
.LBB22_1563:
	s_mov_b32 s2, 0
	s_mov_b32 s6, -1
.LBB22_1564:
	s_andn2_b32 vcc_lo, exec_lo, s2
	s_mov_b32 s2, 0
	s_cbranch_vccnz .LBB22_1575
; %bb.1565:
	s_cmp_gt_i32 s0, 14
	s_cbranch_scc0 .LBB22_1568
; %bb.1566:
	s_cmp_eq_u32 s0, 15
	s_cbranch_scc0 .LBB22_1571
; %bb.1567:
	global_load_ushort v1, v[8:9], off
	s_mov_b32 s1, 0
	s_mov_b32 s6, -1
	s_waitcnt vmcnt(0)
	v_lshlrev_b32_e32 v10, 16, v1
	s_branch .LBB22_1573
.LBB22_1568:
	s_mov_b32 s2, -1
	s_branch .LBB22_1572
.LBB22_1569:
	s_or_saveexec_b32 s6, s6
	v_mov_b32_e32 v10, 0x7f800001
	s_xor_b32 exec_lo, exec_lo, s6
	s_cbranch_execz .LBB22_1550
.LBB22_1570:
	v_cmp_ne_u16_e32 vcc_lo, 0, v1
	v_mov_b32_e32 v10, 0
	s_andn2_b32 s2, s2, exec_lo
	s_and_b32 s7, vcc_lo, exec_lo
	s_or_b32 s2, s2, s7
	s_or_b32 exec_lo, exec_lo, s6
	s_and_saveexec_b32 s6, s2
	s_cbranch_execnz .LBB22_1551
	s_branch .LBB22_1552
.LBB22_1571:
	s_mov_b32 s1, -1
.LBB22_1572:
                                        ; implicit-def: $vgpr10
.LBB22_1573:
	s_and_b32 vcc_lo, exec_lo, s2
	s_mov_b32 s2, 0
	s_cbranch_vccz .LBB22_1575
; %bb.1574:
	s_cmp_lg_u32 s0, 11
	s_mov_b32 s2, -1
	s_cselect_b32 s1, -1, 0
.LBB22_1575:
	s_and_b32 vcc_lo, exec_lo, s1
	s_cbranch_vccnz .LBB22_1654
; %bb.1576:
	s_andn2_b32 vcc_lo, exec_lo, s2
	s_cbranch_vccnz .LBB22_1578
.LBB22_1577:
	global_load_ubyte v1, v[8:9], off
	s_mov_b32 s6, -1
	s_waitcnt vmcnt(0)
	v_cmp_ne_u16_e32 vcc_lo, 0, v1
	v_cndmask_b32_e64 v10, 0, 1.0, vcc_lo
.LBB22_1578:
	s_branch .LBB22_1505
.LBB22_1579:
	s_and_b32 s0, 0xffff, s5
	s_cmp_lt_i32 s0, 5
	s_cbranch_scc1 .LBB22_1584
; %bb.1580:
	s_cmp_lt_i32 s0, 8
	s_cbranch_scc1 .LBB22_1585
; %bb.1581:
	;; [unrolled: 3-line block ×3, first 2 shown]
	s_cmp_gt_i32 s0, 9
	s_cbranch_scc0 .LBB22_1587
; %bb.1583:
	global_load_dwordx2 v[10:11], v[8:9], off
	s_mov_b32 s1, 0
	s_waitcnt vmcnt(0)
	v_cvt_f32_f64_e32 v10, v[10:11]
	s_branch .LBB22_1588
.LBB22_1584:
	s_mov_b32 s1, -1
                                        ; implicit-def: $vgpr10
	s_branch .LBB22_1606
.LBB22_1585:
	s_mov_b32 s1, -1
                                        ; implicit-def: $vgpr10
	s_branch .LBB22_1594
.LBB22_1586:
	s_mov_b32 s1, -1
                                        ; implicit-def: $vgpr10
	s_branch .LBB22_1591
.LBB22_1587:
	s_mov_b32 s1, -1
                                        ; implicit-def: $vgpr10
.LBB22_1588:
	s_andn2_b32 vcc_lo, exec_lo, s1
	s_cbranch_vccnz .LBB22_1590
; %bb.1589:
	global_load_dword v10, v[8:9], off
.LBB22_1590:
	s_mov_b32 s1, 0
.LBB22_1591:
	s_andn2_b32 vcc_lo, exec_lo, s1
	s_cbranch_vccnz .LBB22_1593
; %bb.1592:
	global_load_dword v1, v[8:9], off
	s_waitcnt vmcnt(0)
	v_cvt_f32_f16_e32 v10, v1
.LBB22_1593:
	s_mov_b32 s1, 0
.LBB22_1594:
	s_andn2_b32 vcc_lo, exec_lo, s1
	s_cbranch_vccnz .LBB22_1605
; %bb.1595:
	s_cmp_lt_i32 s0, 6
	s_cbranch_scc1 .LBB22_1598
; %bb.1596:
	s_cmp_gt_i32 s0, 6
	s_cbranch_scc0 .LBB22_1599
; %bb.1597:
	global_load_dwordx2 v[10:11], v[8:9], off
	s_mov_b32 s1, 0
	s_waitcnt vmcnt(0)
	v_cvt_f32_f64_e32 v10, v[10:11]
	s_branch .LBB22_1600
.LBB22_1598:
	s_mov_b32 s1, -1
                                        ; implicit-def: $vgpr10
	s_branch .LBB22_1603
.LBB22_1599:
	s_mov_b32 s1, -1
                                        ; implicit-def: $vgpr10
.LBB22_1600:
	s_andn2_b32 vcc_lo, exec_lo, s1
	s_cbranch_vccnz .LBB22_1602
; %bb.1601:
	global_load_dword v10, v[8:9], off
.LBB22_1602:
	s_mov_b32 s1, 0
.LBB22_1603:
	s_andn2_b32 vcc_lo, exec_lo, s1
	s_cbranch_vccnz .LBB22_1605
; %bb.1604:
	global_load_ushort v1, v[8:9], off
	s_waitcnt vmcnt(0)
	v_cvt_f32_f16_e32 v10, v1
.LBB22_1605:
	s_mov_b32 s1, 0
.LBB22_1606:
	s_andn2_b32 vcc_lo, exec_lo, s1
	s_cbranch_vccnz .LBB22_1626
; %bb.1607:
	s_cmp_lt_i32 s0, 2
	s_cbranch_scc1 .LBB22_1611
; %bb.1608:
	s_cmp_lt_i32 s0, 3
	s_cbranch_scc1 .LBB22_1612
; %bb.1609:
	s_cmp_gt_i32 s0, 3
	s_cbranch_scc0 .LBB22_1613
; %bb.1610:
	global_load_dwordx2 v[10:11], v[8:9], off
	s_mov_b32 s1, 0
	s_waitcnt vmcnt(0)
	v_xor_b32_e32 v1, v10, v11
	v_ffbh_i32_e32 v12, v11
	v_ashrrev_i32_e32 v1, 31, v1
	v_add_nc_u32_e32 v12, -1, v12
	v_add_nc_u32_e32 v1, 32, v1
	v_min_u32_e32 v1, v12, v1
	v_lshlrev_b64 v[10:11], v1, v[10:11]
	v_sub_nc_u32_e32 v1, 32, v1
	v_min_u32_e32 v10, 1, v10
	v_or_b32_e32 v10, v11, v10
	v_cvt_f32_i32_e32 v10, v10
	v_ldexp_f32 v10, v10, v1
	s_branch .LBB22_1614
.LBB22_1611:
	s_mov_b32 s1, -1
                                        ; implicit-def: $vgpr10
	s_branch .LBB22_1620
.LBB22_1612:
	s_mov_b32 s1, -1
                                        ; implicit-def: $vgpr10
	s_branch .LBB22_1617
.LBB22_1613:
	s_mov_b32 s1, -1
                                        ; implicit-def: $vgpr10
.LBB22_1614:
	s_andn2_b32 vcc_lo, exec_lo, s1
	s_cbranch_vccnz .LBB22_1616
; %bb.1615:
	global_load_dword v1, v[8:9], off
	s_waitcnt vmcnt(0)
	v_cvt_f32_i32_e32 v10, v1
.LBB22_1616:
	s_mov_b32 s1, 0
.LBB22_1617:
	s_andn2_b32 vcc_lo, exec_lo, s1
	s_cbranch_vccnz .LBB22_1619
; %bb.1618:
	global_load_sshort v1, v[8:9], off
	s_waitcnt vmcnt(0)
	v_cvt_f32_i32_e32 v10, v1
.LBB22_1619:
	s_mov_b32 s1, 0
.LBB22_1620:
	s_andn2_b32 vcc_lo, exec_lo, s1
	s_cbranch_vccnz .LBB22_1626
; %bb.1621:
	s_cmp_gt_i32 s0, 0
	s_mov_b32 s0, 0
	s_cbranch_scc0 .LBB22_1623
; %bb.1622:
	global_load_sbyte v1, v[8:9], off
	s_waitcnt vmcnt(0)
	v_cvt_f32_i32_e32 v10, v1
	s_branch .LBB22_1624
.LBB22_1623:
	s_mov_b32 s0, -1
                                        ; implicit-def: $vgpr10
.LBB22_1624:
	s_andn2_b32 vcc_lo, exec_lo, s0
	s_cbranch_vccnz .LBB22_1626
; %bb.1625:
	global_load_ubyte v1, v[8:9], off
	s_waitcnt vmcnt(0)
	v_cvt_f32_ubyte0_e32 v10, v1
.LBB22_1626:
.LBB22_1627:
                                        ; implicit-def: $vgpr1
	s_mov_b32 s0, exec_lo
	s_waitcnt vmcnt(0)
	v_cmpx_ge_f32_e32 0x40a00000, v10
	s_xor_b32 s6, exec_lo, s0
	s_cbranch_execz .LBB22_1633
; %bb.1628:
	v_mov_b32_e32 v1, 0xff800000
	s_mov_b32 s7, exec_lo
	v_cmpx_neq_f32_e32 0, v10
	s_cbranch_execz .LBB22_1632
; %bb.1629:
	v_mov_b32_e32 v1, 0x7fc00000
	s_mov_b32 s14, exec_lo
	v_cmpx_nge_f32_e32 0, v10
	s_cbranch_execz .LBB22_1631
; %bb.1630:
	v_mul_f32_e32 v1, v10, v10
	v_cmp_gt_f32_e64 s0, 0x800000, v10
	v_div_scale_f32 v17, null, v10, v10, -1.0
	v_div_scale_f32 v26, s2, -1.0, v10, -1.0
	v_fmaak_f32 v8, 0, v1, 0x4414934d
	v_fmaak_f32 v9, 0, v1, 0x441b3589
	v_fmaak_f32 v11, 0, v1, 0x4e9695f3
	v_fmaak_f32 v12, 0, v1, 0xce5691e2
	v_cndmask_b32_e64 v16, 0, 32, s0
	v_fmaak_f32 v8, v1, v8, 0x48660b06
	v_fmaak_f32 v9, v1, v9, 0x487af6d0
	;; [unrolled: 1-line block ×4, first 2 shown]
	v_rcp_f32_e32 v18, v17
	v_fmaak_f32 v8, v1, v8, 0x4c8c277d
	v_fmaak_f32 v9, v1, v9, 0x4c9f4aa7
	;; [unrolled: 1-line block ×4, first 2 shown]
	v_ldexp_f32 v16, v10, v16
	v_fmaak_f32 v8, v1, v8, 0x508bc61d
	v_fmaak_f32 v9, v1, v9, 0x50a509fc
	;; [unrolled: 1-line block ×4, first 2 shown]
	v_log_f32_e32 v16, v16
	v_fmaak_f32 v8, v1, v8, 0x5461faf8
	v_fmaak_f32 v9, v1, v9, 0x548a37dc
	;; [unrolled: 1-line block ×3, first 2 shown]
	v_fma_f32 v23, -v17, v18, 1.0
	v_fmaak_f32 v8, v1, v8, 0x580d1937
	v_fmaak_f32 v9, v1, v9, 0x58325852
	;; [unrolled: 1-line block ×3, first 2 shown]
	v_fmac_f32_e32 v18, v23, v18
	v_mul_f32_e32 v27, 0x3f317217, v16
	v_fmaak_f32 v8, v1, v8, 0x5b741f1e
	v_fmaak_f32 v9, v1, v9, 0x5b9f0600
	v_fma_f32 v23, 0x3f317217, v16, -v27
	v_fmaak_f32 v8, v1, v8, 0x5e5c878d
	v_fmaak_f32 v1, v1, v9, 0x5e93bcac
	v_div_scale_f32 v9, null, v8, v8, v11
	v_div_scale_f32 v13, null, v1, v1, v12
	v_div_scale_f32 v21, vcc_lo, v11, v8, v11
	v_rcp_f32_e32 v14, v9
	v_rcp_f32_e32 v15, v13
	v_div_scale_f32 v22, s1, v12, v1, v12
	v_fma_f32 v19, -v9, v14, 1.0
	v_fma_f32 v20, -v13, v15, 1.0
	v_fmac_f32_e32 v14, v19, v14
	v_fmac_f32_e32 v15, v20, v15
	v_mul_f32_e32 v19, v21, v14
	v_mul_f32_e32 v20, v22, v15
	v_fma_f32 v24, -v9, v19, v21
	v_fma_f32 v25, -v13, v20, v22
	v_fmac_f32_e32 v19, v24, v14
	v_fmac_f32_e32 v20, v25, v15
	v_fma_f32 v9, -v9, v19, v21
	v_mul_f32_e32 v21, v26, v18
	v_fma_f32 v13, -v13, v20, v22
	v_div_fmas_f32 v9, v9, v14, v19
	s_mov_b32 vcc_lo, s1
	v_fma_f32 v14, -v17, v21, v26
	v_div_fmas_f32 v13, v13, v15, v20
	v_fmamk_f32 v15, v16, 0x3377d1cf, v23
	v_cmp_gt_f32_e64 vcc_lo, 0x7f800000, |v16|
	v_div_fixup_f32 v8, v9, v8, v11
	v_fmac_f32_e32 v21, v14, v18
	v_div_fixup_f32 v1, v13, v1, v12
	v_fmac_f32_e32 v15, 0x3f317217, v16
	v_fmaak_f32 v12, v10, v10, 0xc16ae95a
	v_fmaak_f32 v13, v10, v10, 0xc244dfb3
	v_fma_f32 v17, -v17, v21, v26
	v_mul_f32_e32 v1, v10, v1
	v_cndmask_b32_e32 v15, v16, v15, vcc_lo
	s_mov_b32 vcc_lo, s2
	v_cndmask_b32_e64 v14, 0, 0x41b17218, s0
	v_mul_f32_e32 v1, v12, v1
	v_div_fmas_f32 v12, v17, v18, v21
	v_sub_f32_e32 v14, v15, v14
	v_mul_f32_e32 v1, v13, v1
	v_div_fixup_f32 v12, v12, v10, -1.0
	v_fmac_f32_e32 v12, v14, v1
	v_mul_f32_e32 v1, 0x3f22f983, v12
	v_fmac_f32_e32 v1, v10, v8
.LBB22_1631:
	s_or_b32 exec_lo, exec_lo, s14
.LBB22_1632:
	s_or_b32 exec_lo, exec_lo, s7
                                        ; implicit-def: $vgpr10
.LBB22_1633:
	s_andn2_saveexec_b32 s6, s6
	s_cbranch_execz .LBB22_1643
; %bb.1634:
	v_add_f32_e32 v1, 0xc016cbe4, v10
                                        ; implicit-def: $vgpr11
                                        ; implicit-def: $vgpr9
	v_and_b32_e32 v8, 0x7fffffff, v1
	v_cmp_ngt_f32_e64 s2, 0x48000000, |v1|
	s_and_saveexec_b32 s0, s2
	s_xor_b32 s7, exec_lo, s0
	s_cbranch_execz .LBB22_1636
; %bb.1635:
	s_mov_b32 s0, 0x7fffff
	v_mov_b32_e32 v13, 0
	v_and_or_b32 v9, v8, s0, 0x800000
	v_lshrrev_b32_e32 v18, 23, v8
	v_mad_u64_u32 v[11:12], null, 0xfe5163ab, v9, 0
	v_add_nc_u32_e32 v19, 0xffffff88, v18
	v_cmp_lt_u32_e32 vcc_lo, 63, v19
	v_mad_u64_u32 v[14:15], null, 0x3c439041, v9, v[12:13]
	v_cndmask_b32_e64 v20, 0, 0xffffffc0, vcc_lo
	v_mov_b32_e32 v12, v15
	v_add_nc_u32_e32 v20, v20, v19
	v_mad_u64_u32 v[15:16], null, 0xdb629599, v9, v[12:13]
	v_cmp_lt_u32_e64 s0, 31, v20
	v_cndmask_b32_e64 v21, 0, 0xffffffe0, s0
	v_mov_b32_e32 v12, v16
	v_cndmask_b32_e32 v11, v15, v11, vcc_lo
	v_mad_u64_u32 v[16:17], null, 0xf534ddc0, v9, v[12:13]
	v_mov_b32_e32 v12, v17
	v_cndmask_b32_e32 v14, v16, v14, vcc_lo
	v_mad_u64_u32 v[17:18], null, 0xfc2757d1, v9, v[12:13]
	v_cndmask_b32_e64 v11, v14, v11, s0
	v_mov_b32_e32 v12, v18
	v_mad_u64_u32 v[18:19], null, 0x4e441529, v9, v[12:13]
	v_mov_b32_e32 v12, v19
	v_add_nc_u32_e32 v19, v21, v20
	v_cndmask_b32_e32 v20, v18, v16, vcc_lo
	v_mad_u64_u32 v[12:13], null, 0xa2f9836e, v9, v[12:13]
	v_cmp_lt_u32_e64 s1, 31, v19
	v_cndmask_b32_e64 v9, 0, 0xffffffe0, s1
	v_cndmask_b32_e32 v12, v12, v17, vcc_lo
	v_cndmask_b32_e32 v13, v13, v18, vcc_lo
	;; [unrolled: 1-line block ×3, first 2 shown]
	v_add_nc_u32_e32 v9, v9, v19
	v_cndmask_b32_e64 v16, v12, v20, s0
	v_cndmask_b32_e64 v12, v13, v12, s0
	;; [unrolled: 1-line block ×4, first 2 shown]
	v_sub_nc_u32_e32 v18, 32, v9
	v_cmp_eq_u32_e32 vcc_lo, 0, v9
	v_cndmask_b32_e64 v12, v12, v16, s1
	v_cndmask_b32_e64 v16, v16, v13, s1
	;; [unrolled: 1-line block ×4, first 2 shown]
	v_alignbit_b32 v19, v12, v16, v18
	v_alignbit_b32 v15, v16, v13, v18
	;; [unrolled: 1-line block ×3, first 2 shown]
	v_cndmask_b32_e32 v9, v19, v12, vcc_lo
	v_cndmask_b32_e32 v12, v15, v16, vcc_lo
	;; [unrolled: 1-line block ×3, first 2 shown]
	v_bfe_u32 v14, v9, 29, 1
	v_alignbit_b32 v15, v9, v12, 30
	v_alignbit_b32 v12, v12, v13, 30
	;; [unrolled: 1-line block ×3, first 2 shown]
	v_sub_nc_u32_e32 v16, 0, v14
	v_xor_b32_e32 v15, v15, v16
	v_xor_b32_e32 v12, v12, v16
	;; [unrolled: 1-line block ×3, first 2 shown]
	v_lshrrev_b32_e32 v16, 29, v9
	v_ffbh_u32_e32 v17, v15
	v_min_u32_e32 v17, 32, v17
	v_sub_nc_u32_e32 v13, 31, v17
	v_lshlrev_b32_e32 v18, 23, v17
	v_alignbit_b32 v15, v15, v12, v13
	v_alignbit_b32 v11, v12, v11, v13
	v_lshlrev_b32_e32 v12, 31, v16
	v_alignbit_b32 v13, v15, v11, 9
	v_or_b32_e32 v16, 0.5, v12
	v_lshrrev_b32_e32 v15, 9, v15
	v_or_b32_e32 v12, 0x33000000, v12
	v_ffbh_u32_e32 v19, v13
	v_sub_nc_u32_e32 v16, v16, v18
	v_min_u32_e32 v18, 32, v19
	v_or_b32_e32 v15, v15, v16
	v_not_b32_e32 v16, v18
	v_mul_f32_e32 v19, 0x3fc90fda, v15
	v_add_lshl_u32 v17, v18, v17, 23
	v_alignbit_b32 v11, v13, v11, v16
	v_fma_f32 v13, 0x3fc90fda, v15, -v19
	v_sub_nc_u32_e32 v12, v12, v17
	v_lshrrev_b32_e32 v11, 9, v11
	v_fmamk_f32 v13, v15, 0x33a22168, v13
	v_or_b32_e32 v11, v12, v11
	v_fmac_f32_e32 v13, 0x3fc90fda, v11
	v_lshrrev_b32_e32 v11, 30, v9
	v_add_f32_e32 v9, v19, v13
	v_add_nc_u32_e32 v11, v14, v11
	s_andn2_saveexec_b32 s0, s7
	s_branch .LBB22_1637
.LBB22_1636:
	s_andn2_saveexec_b32 s0, s7
.LBB22_1637:
	v_mul_f32_e64 v9, 0x3f22f983, |v1|
	v_rndne_f32_e32 v11, v9
	v_fma_f32 v9, 0xbfc90fda, v11, |v1|
	v_fmamk_f32 v9, v11, 0xb3a22168, v9
	v_fmamk_f32 v9, v11, 0xa7c234c4, v9
	v_cvt_i32_f32_e32 v11, v11
; %bb.1638:
	s_or_b32 exec_lo, exec_lo, s0
                                        ; implicit-def: $vgpr13
                                        ; implicit-def: $vgpr12
	s_and_saveexec_b32 s0, s2
	s_xor_b32 s2, exec_lo, s0
	s_cbranch_execz .LBB22_1640
; %bb.1639:
	s_mov_b32 s0, 0x7fffff
	v_mov_b32_e32 v14, 0
	v_and_or_b32 v21, v8, s0, 0x800000
	v_lshrrev_b32_e32 v19, 23, v8
	v_mad_u64_u32 v[12:13], null, 0xfe5163ab, v21, 0
	v_add_nc_u32_e32 v20, 0xffffff88, v19
	v_cmp_lt_u32_e32 vcc_lo, 63, v20
	v_mad_u64_u32 v[15:16], null, 0x3c439041, v21, v[13:14]
	v_cndmask_b32_e64 v22, 0, 0xffffffc0, vcc_lo
	v_mov_b32_e32 v13, v16
	v_add_nc_u32_e32 v22, v22, v20
	v_mad_u64_u32 v[16:17], null, 0xdb629599, v21, v[13:14]
	v_cmp_lt_u32_e64 s0, 31, v22
	v_cndmask_b32_e64 v23, 0, 0xffffffe0, s0
	v_mov_b32_e32 v13, v17
	v_cndmask_b32_e32 v12, v16, v12, vcc_lo
	v_mad_u64_u32 v[17:18], null, 0xf534ddc0, v21, v[13:14]
	v_mov_b32_e32 v13, v18
	v_cndmask_b32_e32 v15, v17, v15, vcc_lo
	v_mad_u64_u32 v[18:19], null, 0xfc2757d1, v21, v[13:14]
	v_cndmask_b32_e64 v12, v15, v12, s0
	v_mov_b32_e32 v13, v19
	v_mad_u64_u32 v[19:20], null, 0x4e441529, v21, v[13:14]
	v_mov_b32_e32 v13, v20
	v_add_nc_u32_e32 v20, v23, v22
	v_cndmask_b32_e32 v22, v19, v17, vcc_lo
	v_mad_u64_u32 v[13:14], null, 0xa2f9836e, v21, v[13:14]
	v_cmp_lt_u32_e64 s1, 31, v20
	v_cndmask_b32_e64 v21, 0, 0xffffffe0, s1
	v_cndmask_b32_e32 v13, v13, v18, vcc_lo
	v_cndmask_b32_e32 v14, v14, v19, vcc_lo
	;; [unrolled: 1-line block ×3, first 2 shown]
	v_add_nc_u32_e32 v19, v21, v20
	v_cndmask_b32_e64 v17, v13, v22, s0
	v_cndmask_b32_e64 v13, v14, v13, s0
	;; [unrolled: 1-line block ×4, first 2 shown]
	v_sub_nc_u32_e32 v20, 32, v19
	v_cmp_eq_u32_e32 vcc_lo, 0, v19
	v_cndmask_b32_e64 v13, v13, v17, s1
	v_cndmask_b32_e64 v17, v17, v14, s1
	;; [unrolled: 1-line block ×4, first 2 shown]
	v_alignbit_b32 v21, v13, v17, v20
	v_alignbit_b32 v16, v17, v14, v20
	;; [unrolled: 1-line block ×3, first 2 shown]
	v_cndmask_b32_e32 v13, v21, v13, vcc_lo
	v_cndmask_b32_e32 v15, v16, v17, vcc_lo
	v_cndmask_b32_e32 v14, v19, v14, vcc_lo
	v_bfe_u32 v16, v13, 29, 1
	v_alignbit_b32 v17, v13, v15, 30
	v_alignbit_b32 v15, v15, v14, 30
	v_alignbit_b32 v12, v14, v12, 30
	v_sub_nc_u32_e32 v18, 0, v16
	v_xor_b32_e32 v17, v17, v18
	v_xor_b32_e32 v14, v15, v18
	v_xor_b32_e32 v12, v12, v18
	v_lshrrev_b32_e32 v18, 29, v13
	v_lshrrev_b32_e32 v13, 30, v13
	v_ffbh_u32_e32 v19, v17
	v_add_nc_u32_e32 v13, v16, v13
	v_min_u32_e32 v19, 32, v19
	v_sub_nc_u32_e32 v15, 31, v19
	v_lshlrev_b32_e32 v20, 23, v19
	v_alignbit_b32 v17, v17, v14, v15
	v_alignbit_b32 v12, v14, v12, v15
	v_lshlrev_b32_e32 v14, 31, v18
	v_alignbit_b32 v15, v17, v12, 9
	v_or_b32_e32 v18, 0.5, v14
	v_lshrrev_b32_e32 v17, 9, v17
	v_or_b32_e32 v14, 0x33000000, v14
	v_ffbh_u32_e32 v21, v15
	v_sub_nc_u32_e32 v18, v18, v20
	v_min_u32_e32 v20, 32, v21
	v_or_b32_e32 v17, v17, v18
	v_not_b32_e32 v18, v20
	v_mul_f32_e32 v21, 0x3fc90fda, v17
	v_add_lshl_u32 v19, v20, v19, 23
	v_alignbit_b32 v12, v15, v12, v18
	v_fma_f32 v15, 0x3fc90fda, v17, -v21
	v_sub_nc_u32_e32 v14, v14, v19
	v_lshrrev_b32_e32 v12, 9, v12
	v_fmamk_f32 v15, v17, 0x33a22168, v15
	v_or_b32_e32 v12, v14, v12
	v_fmac_f32_e32 v15, 0x3fc90fda, v12
	v_add_f32_e32 v12, v21, v15
	s_andn2_saveexec_b32 s0, s2
	s_cbranch_execnz .LBB22_1641
	s_branch .LBB22_1642
.LBB22_1640:
	s_andn2_saveexec_b32 s0, s2
.LBB22_1641:
	v_mul_f32_e64 v12, 0x3f22f983, |v1|
	v_rndne_f32_e32 v13, v12
	v_fma_f32 v12, 0xbfc90fda, v13, |v1|
	v_fmamk_f32 v12, v13, 0xb3a22168, v12
	v_fmamk_f32 v12, v13, 0xa7c234c4, v12
	v_cvt_i32_f32_e32 v13, v13
.LBB22_1642:
	s_or_b32 exec_lo, exec_lo, s0
	v_div_scale_f32 v14, null, v10, v10, 0x40a00000
	v_div_scale_f32 v17, vcc_lo, 0x40a00000, v10, 0x40a00000
	s_mov_b32 s0, 0xb94c1982
	v_rcp_f32_e32 v15, v14
	v_mul_f32_e32 v24, 0x4f800000, v10
	s_mov_b32 s1, 0x37d75334
	v_and_b32_e32 v19, 1, v13
	v_xor_b32_e32 v8, v8, v1
	v_lshlrev_b32_e32 v13, 30, v13
	v_and_b32_e32 v13, 0x80000000, v13
	v_fma_f32 v16, -v14, v15, 1.0
	v_fmac_f32_e32 v15, v16, v15
	v_mul_f32_e32 v16, v17, v15
	v_fma_f32 v18, -v14, v16, v17
	v_fmac_f32_e32 v16, v18, v15
	v_mul_f32_e32 v18, v12, v12
	v_fma_f32 v14, -v14, v16, v17
	v_fmaak_f32 v27, s0, v18, 0x3c0881c4
	v_fmaak_f32 v28, s1, v18, 0xbab64f3b
	v_div_fmas_f32 v14, v14, v15, v16
	v_mul_f32_e32 v15, v9, v9
	v_fmaak_f32 v28, v18, v28, 0x3d2aabf7
	v_and_b32_e32 v16, 1, v11
	v_fmaak_f32 v27, v18, v27, 0xbe2aaa9d
	v_div_fixup_f32 v14, v14, v10, 0x40a00000
	v_fmaak_f32 v25, s0, v15, 0x3c0881c4
	v_cmp_gt_f32_e64 s0, 0xf800000, v10
	v_fmaak_f32 v26, s1, v15, 0xbab64f3b
	v_fmaak_f32 v28, v18, v28, 0xbf000004
	v_mul_f32_e32 v17, v14, v14
	v_fmaak_f32 v25, v15, v25, 0xbe2aaa9d
	v_cndmask_b32_e64 v10, v10, v24, s0
	v_fmaak_f32 v26, v15, v26, 0x3d2aabf7
	v_mul_f32_e32 v27, v18, v27
	v_fmaak_f32 v20, 0, v17, 0x3d513fd3
	v_fmaak_f32 v21, 0, v17, 0x3a15c4d9
	;; [unrolled: 1-line block ×4, first 2 shown]
	v_mul_f32_e32 v25, v15, v25
	v_fmaak_f32 v20, v17, v20, 0x409f6dae
	v_fmaak_f32 v21, v17, v21, 0x3d8cfeeb
	;; [unrolled: 1-line block ×9, first 2 shown]
	v_fmac_f32_e32 v9, v9, v25
	v_fmaak_f32 v20, v17, v20, 0x43b763ca
	v_fmaak_f32 v21, v17, v21, 0x40a25d18
	;; [unrolled: 1-line block ×4, first 2 shown]
	v_sqrt_f32_e32 v31, v10
	v_fmaak_f32 v20, v17, v20, 0x4431b6ce
	v_fmaak_f32 v21, v17, v21, 0x410665cf
	;; [unrolled: 1-line block ×4, first 2 shown]
	v_fma_f32 v15, v15, v26, 1.0
	v_fmaak_f32 v20, v17, v20, 0x44155f56
	v_fmaak_f32 v21, v17, v21, 0x40a6b6ea
	;; [unrolled: 1-line block ×4, first 2 shown]
	v_fma_f32 v18, v18, v28, 1.0
	v_fmaak_f32 v20, v17, v20, 0x4353b052
	v_fma_f32 v21, v17, v21, 1.0
	v_fma_f32 v22, v17, v22, 1.0
	v_fmaak_f32 v23, v17, v23, 0x43a80bfb
	v_cmp_eq_u32_e64 s2, 0, v16
	v_fmaak_f32 v17, v17, v20, 0x41c9a7fa
	v_lshlrev_b32_e32 v11, 30, v11
	v_div_scale_f32 v20, null, v21, v21, v22
	v_div_scale_f32 v34, vcc_lo, v22, v21, v22
	v_div_scale_f32 v29, null, v23, v23, v17
	v_rcp_f32_e32 v24, v20
	v_fmac_f32_e32 v12, v12, v27
	v_cndmask_b32_e64 v9, v15, v9, s2
	v_rcp_f32_e32 v30, v29
	v_cmp_eq_u32_e64 s2, 0, v19
	v_and_b32_e32 v11, 0x80000000, v11
	v_add_nc_u32_e32 v27, -1, v31
	v_cndmask_b32_e64 v12, -v12, v18, s2
	v_fma_f32 v32, -v20, v24, 1.0
	v_fma_f32 v15, -v27, v31, v10
	v_xor3_b32 v8, v8, v11, v9
	v_fma_f32 v33, -v29, v30, 1.0
	v_xor_b32_e32 v12, v13, v12
	v_fmac_f32_e32 v24, v32, v24
	v_div_scale_f32 v32, s1, v17, v23, v17
	v_fmac_f32_e32 v30, v33, v30
	v_add_nc_u32_e32 v33, 1, v31
	v_mul_f32_e32 v25, v34, v24
	v_mul_f32_e32 v26, v32, v30
	v_fma_f32 v16, -v33, v31, v10
	v_fma_f32 v28, -v20, v25, v34
	;; [unrolled: 1-line block ×3, first 2 shown]
	v_fmac_f32_e32 v25, v28, v24
	v_fmac_f32_e32 v26, v35, v30
	v_fma_f32 v18, -v20, v25, v34
	v_fma_f32 v9, -v29, v26, v32
	v_div_fmas_f32 v11, v18, v24, v25
	s_mov_b32 vcc_lo, s1
	v_cmp_ge_f32_e64 s1, 0, v15
	v_div_fmas_f32 v9, v9, v30, v26
	v_cmp_class_f32_e64 vcc_lo, v1, 0x1f8
	v_div_fixup_f32 v11, v11, v21, v22
	v_cndmask_b32_e64 v1, v31, v27, s1
	v_div_fixup_f32 v9, v9, v23, v17
	v_cmp_lt_f32_e64 s1, 0, v16
	v_cndmask_b32_e32 v12, 0x7fc00000, v12, vcc_lo
	v_cndmask_b32_e32 v8, 0x7fc00000, v8, vcc_lo
	v_cmp_class_f32_e64 vcc_lo, v10, 0x260
	v_mul_f32_e32 v9, v14, v9
	v_cndmask_b32_e64 v1, v1, v33, s1
	v_mul_f32_e32 v9, v9, v12
	v_mul_f32_e32 v13, 0x37800000, v1
	v_fmac_f32_e32 v9, v11, v8
	v_cndmask_b32_e64 v1, v1, v13, s0
	v_mul_f32_e32 v8, 0x3f4c422a, v9
	v_cndmask_b32_e32 v1, v1, v10, vcc_lo
	v_div_scale_f32 v9, null, v1, v1, v8
	v_rcp_f32_e32 v10, v9
	v_fma_f32 v11, -v9, v10, 1.0
	v_fmac_f32_e32 v10, v11, v10
	v_div_scale_f32 v11, vcc_lo, v8, v1, v8
	v_mul_f32_e32 v12, v11, v10
	v_fma_f32 v13, -v9, v12, v11
	v_fmac_f32_e32 v12, v13, v10
	v_fma_f32 v9, -v9, v12, v11
	v_div_fmas_f32 v9, v9, v10, v12
	v_div_fixup_f32 v1, v9, v1, v8
.LBB22_1643:
	s_or_b32 exec_lo, exec_lo, s6
	v_add_co_u32 v7, s0, s10, v7
	v_add_co_ci_u32_e64 v8, null, s11, 0, s0
	s_cmp_lt_i32 s5, 11
	s_cbranch_scc1 .LBB22_1650
; %bb.1644:
	s_and_b32 s0, 0xffff, s5
	s_mov_b32 s2, 0
	s_cmp_gt_i32 s0, 25
	s_cbranch_scc0 .LBB22_1651
; %bb.1645:
	s_cmp_gt_i32 s0, 28
	s_cbranch_scc0 .LBB22_1652
; %bb.1646:
	;; [unrolled: 3-line block ×4, first 2 shown]
	s_cmp_eq_u32 s0, 46
	s_mov_b32 s7, 0
	s_cbranch_scc0 .LBB22_1656
; %bb.1649:
	global_load_dword v9, v[7:8], off
	s_mov_b32 s1, 0
	s_mov_b32 s6, -1
	s_waitcnt vmcnt(0)
	v_lshlrev_b32_e32 v9, 16, v9
	s_branch .LBB22_1658
.LBB22_1650:
	s_mov_b32 s0, -1
	s_mov_b32 s6, 0
                                        ; implicit-def: $vgpr9
	s_branch .LBB22_1724
.LBB22_1651:
	s_mov_b32 s7, -1
	s_mov_b32 s6, 0
	s_mov_b32 s1, 0
                                        ; implicit-def: $vgpr9
	s_branch .LBB22_1687
.LBB22_1652:
	s_mov_b32 s7, -1
	s_mov_b32 s6, 0
	s_mov_b32 s1, 0
                                        ; implicit-def: $vgpr9
	s_branch .LBB22_1668
.LBB22_1653:
	s_mov_b32 s7, -1
	s_mov_b32 s6, 0
	s_mov_b32 s1, 0
                                        ; implicit-def: $vgpr9
	s_branch .LBB22_1663
.LBB22_1654:
	s_or_b32 s3, s3, exec_lo
	s_trap 2
	s_cbranch_execz .LBB22_1577
	s_branch .LBB22_1578
.LBB22_1655:
	s_mov_b32 s7, -1
	s_mov_b32 s6, 0
	s_mov_b32 s1, 0
	s_branch .LBB22_1657
.LBB22_1656:
	s_mov_b32 s1, -1
	s_mov_b32 s6, 0
.LBB22_1657:
                                        ; implicit-def: $vgpr9
.LBB22_1658:
	s_and_b32 vcc_lo, exec_lo, s7
	s_cbranch_vccz .LBB22_1662
; %bb.1659:
	s_cmp_eq_u32 s0, 44
	s_cbranch_scc0 .LBB22_1661
; %bb.1660:
	global_load_ubyte v9, v[7:8], off
	s_mov_b32 s1, 0
	s_mov_b32 s6, -1
	s_waitcnt vmcnt(0)
	v_lshlrev_b32_e32 v10, 23, v9
	v_cmp_ne_u32_e32 vcc_lo, 0xff, v9
	v_cndmask_b32_e32 v10, 0x7f800001, v10, vcc_lo
	v_cmp_ne_u32_e32 vcc_lo, 0, v9
	v_cndmask_b32_e32 v9, 0x400000, v10, vcc_lo
	s_branch .LBB22_1662
.LBB22_1661:
	s_mov_b32 s1, -1
                                        ; implicit-def: $vgpr9
.LBB22_1662:
	s_mov_b32 s7, 0
.LBB22_1663:
	s_and_b32 vcc_lo, exec_lo, s7
	s_cbranch_vccz .LBB22_1667
; %bb.1664:
	s_cmp_eq_u32 s0, 29
	s_cbranch_scc0 .LBB22_1666
; %bb.1665:
	global_load_dwordx2 v[9:10], v[7:8], off
	s_mov_b32 s1, 0
	s_mov_b32 s6, -1
	s_mov_b32 s7, 0
	s_waitcnt vmcnt(0)
	v_ffbh_u32_e32 v11, v10
	v_min_u32_e32 v11, 32, v11
	v_lshlrev_b64 v[9:10], v11, v[9:10]
	v_min_u32_e32 v9, 1, v9
	v_or_b32_e32 v9, v10, v9
	v_sub_nc_u32_e32 v10, 32, v11
	v_cvt_f32_u32_e32 v9, v9
	v_ldexp_f32 v9, v9, v10
	s_branch .LBB22_1668
.LBB22_1666:
	s_mov_b32 s1, -1
                                        ; implicit-def: $vgpr9
.LBB22_1667:
	s_mov_b32 s7, 0
.LBB22_1668:
	s_and_b32 vcc_lo, exec_lo, s7
	s_cbranch_vccz .LBB22_1686
; %bb.1669:
	s_cmp_lt_i32 s0, 27
	s_cbranch_scc1 .LBB22_1672
; %bb.1670:
	s_cmp_gt_i32 s0, 27
	s_cbranch_scc0 .LBB22_1673
; %bb.1671:
	global_load_dword v9, v[7:8], off
	s_mov_b32 s6, 0
	s_waitcnt vmcnt(0)
	v_cvt_f32_u32_e32 v9, v9
	s_branch .LBB22_1674
.LBB22_1672:
	s_mov_b32 s6, -1
                                        ; implicit-def: $vgpr9
	s_branch .LBB22_1677
.LBB22_1673:
	s_mov_b32 s6, -1
                                        ; implicit-def: $vgpr9
.LBB22_1674:
	s_andn2_b32 vcc_lo, exec_lo, s6
	s_cbranch_vccnz .LBB22_1676
; %bb.1675:
	global_load_ushort v9, v[7:8], off
	s_waitcnt vmcnt(0)
	v_cvt_f32_u32_e32 v9, v9
.LBB22_1676:
	s_mov_b32 s6, 0
.LBB22_1677:
	s_andn2_b32 vcc_lo, exec_lo, s6
	s_cbranch_vccnz .LBB22_1685
; %bb.1678:
	global_load_ubyte v10, v[7:8], off
	s_mov_b32 s6, 0
	s_mov_b32 s7, exec_lo
	s_waitcnt vmcnt(0)
	v_cmpx_lt_i16_e32 0x7f, v10
	s_xor_b32 s7, exec_lo, s7
	s_cbranch_execz .LBB22_1699
; %bb.1679:
	s_mov_b32 s6, -1
	s_mov_b32 s10, exec_lo
	v_cmpx_eq_u16_e32 0x80, v10
; %bb.1680:
	s_xor_b32 s6, exec_lo, -1
; %bb.1681:
	s_or_b32 exec_lo, exec_lo, s10
	s_and_b32 s6, s6, exec_lo
	s_or_saveexec_b32 s7, s7
	v_mov_b32_e32 v9, 0x7f800001
	s_xor_b32 exec_lo, exec_lo, s7
	s_cbranch_execnz .LBB22_1700
.LBB22_1682:
	s_or_b32 exec_lo, exec_lo, s7
	s_and_saveexec_b32 s7, s6
	s_cbranch_execz .LBB22_1684
.LBB22_1683:
	v_and_b32_e32 v9, 0xffff, v10
	v_lshlrev_b32_e32 v10, 24, v10
	v_and_b32_e32 v11, 7, v9
	v_bfe_u32 v14, v9, 3, 4
	v_and_b32_e32 v10, 0x80000000, v10
	v_ffbh_u32_e32 v12, v11
	v_cmp_eq_u32_e32 vcc_lo, 0, v14
	v_min_u32_e32 v12, 32, v12
	v_subrev_nc_u32_e32 v13, 28, v12
	v_sub_nc_u32_e32 v12, 29, v12
	v_lshlrev_b32_e32 v9, v13, v9
	v_cndmask_b32_e32 v12, v14, v12, vcc_lo
	v_and_b32_e32 v9, 7, v9
	v_cndmask_b32_e32 v9, v11, v9, vcc_lo
	v_lshl_add_u32 v11, v12, 23, 0x3b800000
	v_lshlrev_b32_e32 v9, 20, v9
	v_or3_b32 v9, v10, v11, v9
.LBB22_1684:
	s_or_b32 exec_lo, exec_lo, s7
.LBB22_1685:
	s_mov_b32 s6, -1
.LBB22_1686:
	s_mov_b32 s7, 0
.LBB22_1687:
	s_and_b32 vcc_lo, exec_lo, s7
	s_cbranch_vccz .LBB22_1720
; %bb.1688:
	s_cmp_gt_i32 s0, 22
	s_cbranch_scc0 .LBB22_1698
; %bb.1689:
	s_cmp_lt_i32 s0, 24
	s_cbranch_scc1 .LBB22_1701
; %bb.1690:
	s_cmp_gt_i32 s0, 24
	s_cbranch_scc0 .LBB22_1702
; %bb.1691:
	global_load_ubyte v10, v[7:8], off
	s_mov_b32 s6, exec_lo
	s_waitcnt vmcnt(0)
	v_cmpx_lt_i16_e32 0x7f, v10
	s_xor_b32 s6, exec_lo, s6
	s_cbranch_execz .LBB22_1714
; %bb.1692:
	s_mov_b32 s2, -1
	s_mov_b32 s7, exec_lo
	v_cmpx_eq_u16_e32 0x80, v10
; %bb.1693:
	s_xor_b32 s2, exec_lo, -1
; %bb.1694:
	s_or_b32 exec_lo, exec_lo, s7
	s_and_b32 s2, s2, exec_lo
	s_or_saveexec_b32 s6, s6
	v_mov_b32_e32 v9, 0x7f800001
	s_xor_b32 exec_lo, exec_lo, s6
	s_cbranch_execnz .LBB22_1715
.LBB22_1695:
	s_or_b32 exec_lo, exec_lo, s6
	s_and_saveexec_b32 s6, s2
	s_cbranch_execz .LBB22_1697
.LBB22_1696:
	v_and_b32_e32 v9, 0xffff, v10
	v_lshlrev_b32_e32 v10, 24, v10
	v_and_b32_e32 v11, 3, v9
	v_bfe_u32 v14, v9, 2, 5
	v_and_b32_e32 v10, 0x80000000, v10
	v_ffbh_u32_e32 v12, v11
	v_cmp_eq_u32_e32 vcc_lo, 0, v14
	v_min_u32_e32 v12, 32, v12
	v_subrev_nc_u32_e32 v13, 29, v12
	v_sub_nc_u32_e32 v12, 30, v12
	v_lshlrev_b32_e32 v9, v13, v9
	v_cndmask_b32_e32 v12, v14, v12, vcc_lo
	v_and_b32_e32 v9, 3, v9
	v_cndmask_b32_e32 v9, v11, v9, vcc_lo
	v_lshl_add_u32 v11, v12, 23, 0x37800000
	v_lshlrev_b32_e32 v9, 21, v9
	v_or3_b32 v9, v10, v11, v9
.LBB22_1697:
	s_or_b32 exec_lo, exec_lo, s6
	s_mov_b32 s2, 0
	s_branch .LBB22_1703
.LBB22_1698:
	s_mov_b32 s2, -1
                                        ; implicit-def: $vgpr9
	s_branch .LBB22_1709
.LBB22_1699:
	s_or_saveexec_b32 s7, s7
	v_mov_b32_e32 v9, 0x7f800001
	s_xor_b32 exec_lo, exec_lo, s7
	s_cbranch_execz .LBB22_1682
.LBB22_1700:
	v_cmp_ne_u16_e32 vcc_lo, 0, v10
	v_mov_b32_e32 v9, 0
	s_andn2_b32 s6, s6, exec_lo
	s_and_b32 s10, vcc_lo, exec_lo
	s_or_b32 s6, s6, s10
	s_or_b32 exec_lo, exec_lo, s7
	s_and_saveexec_b32 s7, s6
	s_cbranch_execnz .LBB22_1683
	s_branch .LBB22_1684
.LBB22_1701:
	s_mov_b32 s2, -1
                                        ; implicit-def: $vgpr9
	s_branch .LBB22_1706
.LBB22_1702:
	s_mov_b32 s2, -1
                                        ; implicit-def: $vgpr9
.LBB22_1703:
	s_and_b32 vcc_lo, exec_lo, s2
	s_cbranch_vccz .LBB22_1705
; %bb.1704:
	global_load_ubyte v9, v[7:8], off
	s_waitcnt vmcnt(0)
	v_lshlrev_b32_e32 v9, 24, v9
	v_and_b32_e32 v10, 0x7f000000, v9
	v_ffbh_u32_e32 v11, v10
	v_add_nc_u32_e32 v13, 0x1000000, v10
	v_cmp_ne_u32_e32 vcc_lo, 0, v10
	v_min_u32_e32 v11, 32, v11
	v_sub_nc_u32_e64 v11, v11, 4 clamp
	v_lshlrev_b32_e32 v12, v11, v10
	v_lshlrev_b32_e32 v11, 23, v11
	v_lshrrev_b32_e32 v12, 4, v12
	v_sub_nc_u32_e32 v11, v12, v11
	v_ashrrev_i32_e32 v12, 8, v13
	v_add_nc_u32_e32 v11, 0x3c000000, v11
	v_and_or_b32 v11, 0x7f800000, v12, v11
	v_cndmask_b32_e32 v10, 0, v11, vcc_lo
	v_and_or_b32 v9, 0x80000000, v9, v10
.LBB22_1705:
	s_mov_b32 s2, 0
.LBB22_1706:
	s_andn2_b32 vcc_lo, exec_lo, s2
	s_cbranch_vccnz .LBB22_1708
; %bb.1707:
	global_load_ubyte v9, v[7:8], off
	s_waitcnt vmcnt(0)
	v_lshlrev_b32_e32 v10, 25, v9
	v_lshlrev_b16 v9, 8, v9
	v_lshrrev_b32_e32 v11, 4, v10
	v_and_or_b32 v12, 0x7f00, v9, 0.5
	v_cmp_gt_u32_e32 vcc_lo, 0x8000000, v10
	v_bfe_i32 v9, v9, 0, 16
	v_or_b32_e32 v11, 0x70000000, v11
	v_add_f32_e32 v12, -0.5, v12
	v_mul_f32_e32 v11, 0x7800000, v11
	v_cndmask_b32_e32 v10, v11, v12, vcc_lo
	v_and_or_b32 v9, 0x80000000, v9, v10
.LBB22_1708:
	s_mov_b32 s2, 0
	s_mov_b32 s6, -1
.LBB22_1709:
	s_andn2_b32 vcc_lo, exec_lo, s2
	s_mov_b32 s2, 0
	s_cbranch_vccnz .LBB22_1720
; %bb.1710:
	s_cmp_gt_i32 s0, 14
	s_cbranch_scc0 .LBB22_1713
; %bb.1711:
	s_cmp_eq_u32 s0, 15
	s_cbranch_scc0 .LBB22_1716
; %bb.1712:
	global_load_ushort v9, v[7:8], off
	s_mov_b32 s1, 0
	s_mov_b32 s6, -1
	s_waitcnt vmcnt(0)
	v_lshlrev_b32_e32 v9, 16, v9
	s_branch .LBB22_1718
.LBB22_1713:
	s_mov_b32 s2, -1
	s_branch .LBB22_1717
.LBB22_1714:
	s_or_saveexec_b32 s6, s6
	v_mov_b32_e32 v9, 0x7f800001
	s_xor_b32 exec_lo, exec_lo, s6
	s_cbranch_execz .LBB22_1695
.LBB22_1715:
	v_cmp_ne_u16_e32 vcc_lo, 0, v10
	v_mov_b32_e32 v9, 0
	s_andn2_b32 s2, s2, exec_lo
	s_and_b32 s7, vcc_lo, exec_lo
	s_or_b32 s2, s2, s7
	s_or_b32 exec_lo, exec_lo, s6
	s_and_saveexec_b32 s6, s2
	s_cbranch_execnz .LBB22_1696
	s_branch .LBB22_1697
.LBB22_1716:
	s_mov_b32 s1, -1
.LBB22_1717:
                                        ; implicit-def: $vgpr9
.LBB22_1718:
	s_and_b32 vcc_lo, exec_lo, s2
	s_mov_b32 s2, 0
	s_cbranch_vccz .LBB22_1720
; %bb.1719:
	s_cmp_lg_u32 s0, 11
	s_mov_b32 s2, -1
	s_cselect_b32 s1, -1, 0
.LBB22_1720:
	s_and_b32 vcc_lo, exec_lo, s1
	s_cbranch_vccnz .LBB22_2270
; %bb.1721:
	s_andn2_b32 vcc_lo, exec_lo, s2
	s_cbranch_vccnz .LBB22_1723
.LBB22_1722:
	global_load_ubyte v9, v[7:8], off
	s_mov_b32 s6, -1
	s_waitcnt vmcnt(0)
	v_cmp_ne_u16_e32 vcc_lo, 0, v9
	v_cndmask_b32_e64 v9, 0, 1.0, vcc_lo
.LBB22_1723:
	s_mov_b32 s0, 0
.LBB22_1724:
	s_and_b32 vcc_lo, exec_lo, s0
	s_cbranch_vccz .LBB22_1773
; %bb.1725:
	s_and_b32 s0, 0xffff, s5
	s_cmp_lt_i32 s0, 5
	s_cbranch_scc1 .LBB22_1730
; %bb.1726:
	s_cmp_lt_i32 s0, 8
	s_cbranch_scc1 .LBB22_1731
; %bb.1727:
	;; [unrolled: 3-line block ×3, first 2 shown]
	s_cmp_gt_i32 s0, 9
	s_cbranch_scc0 .LBB22_1733
; %bb.1729:
	global_load_dwordx2 v[9:10], v[7:8], off
	s_mov_b32 s1, 0
	s_waitcnt vmcnt(0)
	v_cvt_f32_f64_e32 v9, v[9:10]
	s_branch .LBB22_1734
.LBB22_1730:
	s_mov_b32 s1, -1
                                        ; implicit-def: $vgpr9
	s_branch .LBB22_1752
.LBB22_1731:
	s_mov_b32 s1, -1
                                        ; implicit-def: $vgpr9
	s_branch .LBB22_1740
.LBB22_1732:
	s_mov_b32 s1, -1
                                        ; implicit-def: $vgpr9
	s_branch .LBB22_1737
.LBB22_1733:
	s_mov_b32 s1, -1
                                        ; implicit-def: $vgpr9
.LBB22_1734:
	s_andn2_b32 vcc_lo, exec_lo, s1
	s_cbranch_vccnz .LBB22_1736
; %bb.1735:
	global_load_dword v9, v[7:8], off
.LBB22_1736:
	s_mov_b32 s1, 0
.LBB22_1737:
	s_andn2_b32 vcc_lo, exec_lo, s1
	s_cbranch_vccnz .LBB22_1739
; %bb.1738:
	global_load_dword v9, v[7:8], off
	s_waitcnt vmcnt(0)
	v_cvt_f32_f16_e32 v9, v9
.LBB22_1739:
	s_mov_b32 s1, 0
.LBB22_1740:
	s_andn2_b32 vcc_lo, exec_lo, s1
	s_cbranch_vccnz .LBB22_1751
; %bb.1741:
	s_cmp_lt_i32 s0, 6
	s_cbranch_scc1 .LBB22_1744
; %bb.1742:
	s_cmp_gt_i32 s0, 6
	s_cbranch_scc0 .LBB22_1745
; %bb.1743:
	global_load_dwordx2 v[9:10], v[7:8], off
	s_mov_b32 s1, 0
	s_waitcnt vmcnt(0)
	v_cvt_f32_f64_e32 v9, v[9:10]
	s_branch .LBB22_1746
.LBB22_1744:
	s_mov_b32 s1, -1
                                        ; implicit-def: $vgpr9
	s_branch .LBB22_1749
.LBB22_1745:
	s_mov_b32 s1, -1
                                        ; implicit-def: $vgpr9
.LBB22_1746:
	s_andn2_b32 vcc_lo, exec_lo, s1
	s_cbranch_vccnz .LBB22_1748
; %bb.1747:
	global_load_dword v9, v[7:8], off
.LBB22_1748:
	s_mov_b32 s1, 0
.LBB22_1749:
	s_andn2_b32 vcc_lo, exec_lo, s1
	s_cbranch_vccnz .LBB22_1751
; %bb.1750:
	global_load_ushort v9, v[7:8], off
	s_waitcnt vmcnt(0)
	v_cvt_f32_f16_e32 v9, v9
.LBB22_1751:
	s_mov_b32 s1, 0
.LBB22_1752:
	s_andn2_b32 vcc_lo, exec_lo, s1
	s_cbranch_vccnz .LBB22_1772
; %bb.1753:
	s_cmp_lt_i32 s0, 2
	s_cbranch_scc1 .LBB22_1757
; %bb.1754:
	s_cmp_lt_i32 s0, 3
	s_cbranch_scc1 .LBB22_1758
; %bb.1755:
	s_cmp_gt_i32 s0, 3
	s_cbranch_scc0 .LBB22_1759
; %bb.1756:
	global_load_dwordx2 v[9:10], v[7:8], off
	s_mov_b32 s1, 0
	s_waitcnt vmcnt(0)
	v_xor_b32_e32 v11, v9, v10
	v_ffbh_i32_e32 v12, v10
	v_ashrrev_i32_e32 v11, 31, v11
	v_add_nc_u32_e32 v12, -1, v12
	v_add_nc_u32_e32 v11, 32, v11
	v_min_u32_e32 v11, v12, v11
	v_lshlrev_b64 v[9:10], v11, v[9:10]
	v_min_u32_e32 v9, 1, v9
	v_or_b32_e32 v9, v10, v9
	v_sub_nc_u32_e32 v10, 32, v11
	v_cvt_f32_i32_e32 v9, v9
	v_ldexp_f32 v9, v9, v10
	s_branch .LBB22_1760
.LBB22_1757:
	s_mov_b32 s1, -1
                                        ; implicit-def: $vgpr9
	s_branch .LBB22_1766
.LBB22_1758:
	s_mov_b32 s1, -1
                                        ; implicit-def: $vgpr9
	s_branch .LBB22_1763
.LBB22_1759:
	s_mov_b32 s1, -1
                                        ; implicit-def: $vgpr9
.LBB22_1760:
	s_andn2_b32 vcc_lo, exec_lo, s1
	s_cbranch_vccnz .LBB22_1762
; %bb.1761:
	global_load_dword v9, v[7:8], off
	s_waitcnt vmcnt(0)
	v_cvt_f32_i32_e32 v9, v9
.LBB22_1762:
	s_mov_b32 s1, 0
.LBB22_1763:
	s_andn2_b32 vcc_lo, exec_lo, s1
	s_cbranch_vccnz .LBB22_1765
; %bb.1764:
	global_load_sshort v9, v[7:8], off
	s_waitcnt vmcnt(0)
	v_cvt_f32_i32_e32 v9, v9
.LBB22_1765:
	s_mov_b32 s1, 0
.LBB22_1766:
	s_andn2_b32 vcc_lo, exec_lo, s1
	s_cbranch_vccnz .LBB22_1772
; %bb.1767:
	s_cmp_gt_i32 s0, 0
	s_mov_b32 s0, 0
	s_cbranch_scc0 .LBB22_1769
; %bb.1768:
	global_load_sbyte v9, v[7:8], off
	s_waitcnt vmcnt(0)
	v_cvt_f32_i32_e32 v9, v9
	s_branch .LBB22_1770
.LBB22_1769:
	s_mov_b32 s0, -1
                                        ; implicit-def: $vgpr9
.LBB22_1770:
	s_andn2_b32 vcc_lo, exec_lo, s0
	s_cbranch_vccnz .LBB22_1772
; %bb.1771:
	global_load_ubyte v7, v[7:8], off
	s_waitcnt vmcnt(0)
	v_cvt_f32_ubyte0_e32 v9, v7
.LBB22_1772:
	s_mov_b32 s6, -1
.LBB22_1773:
	s_andn2_b32 vcc_lo, exec_lo, s6
	s_cbranch_vccnz .LBB22_1783
; %bb.1774:
                                        ; implicit-def: $vgpr7
	s_mov_b32 s0, exec_lo
	s_waitcnt vmcnt(0)
	v_cmpx_ge_f32_e32 0x40a00000, v9
	s_xor_b32 s5, exec_lo, s0
	s_cbranch_execz .LBB22_1780
; %bb.1775:
	v_mov_b32_e32 v7, 0xff800000
	s_mov_b32 s6, exec_lo
	v_cmpx_neq_f32_e32 0, v9
	s_cbranch_execz .LBB22_1779
; %bb.1776:
	v_mov_b32_e32 v7, 0x7fc00000
	s_mov_b32 s7, exec_lo
	v_cmpx_nge_f32_e32 0, v9
	s_cbranch_execz .LBB22_1778
; %bb.1777:
	v_mul_f32_e32 v7, v9, v9
	v_cmp_gt_f32_e64 s0, 0x800000, v9
	v_div_scale_f32 v17, null, v9, v9, -1.0
	v_div_scale_f32 v26, s2, -1.0, v9, -1.0
	v_fmaak_f32 v8, 0, v7, 0x4414934d
	v_fmaak_f32 v10, 0, v7, 0x441b3589
	;; [unrolled: 1-line block ×4, first 2 shown]
	v_cndmask_b32_e64 v16, 0, 32, s0
	v_fmaak_f32 v8, v7, v8, 0x48660b06
	v_fmaak_f32 v10, v7, v10, 0x487af6d0
	;; [unrolled: 1-line block ×4, first 2 shown]
	v_rcp_f32_e32 v18, v17
	v_fmaak_f32 v8, v7, v8, 0x4c8c277d
	v_fmaak_f32 v10, v7, v10, 0x4c9f4aa7
	;; [unrolled: 1-line block ×4, first 2 shown]
	v_ldexp_f32 v16, v9, v16
	v_fmaak_f32 v8, v7, v8, 0x508bc61d
	v_fmaak_f32 v10, v7, v10, 0x50a509fc
	;; [unrolled: 1-line block ×4, first 2 shown]
	v_log_f32_e32 v16, v16
	v_fmaak_f32 v8, v7, v8, 0x5461faf8
	v_fmaak_f32 v10, v7, v10, 0x548a37dc
	v_fmaak_f32 v11, v7, v11, 0x5c33cd68
	v_fma_f32 v23, -v17, v18, 1.0
	v_fmaak_f32 v8, v7, v8, 0x580d1937
	v_fmaak_f32 v10, v7, v10, 0x58325852
	;; [unrolled: 1-line block ×3, first 2 shown]
	v_fmac_f32_e32 v18, v23, v18
	v_mul_f32_e32 v27, 0x3f317217, v16
	v_fmaak_f32 v8, v7, v8, 0x5b741f1e
	v_fmaak_f32 v10, v7, v10, 0x5b9f0600
	v_fma_f32 v23, 0x3f317217, v16, -v27
	v_fmaak_f32 v8, v7, v8, 0x5e5c878d
	v_fmaak_f32 v7, v7, v10, 0x5e93bcac
	v_div_scale_f32 v10, null, v8, v8, v11
	v_div_scale_f32 v13, null, v7, v7, v12
	v_div_scale_f32 v21, vcc_lo, v11, v8, v11
	v_rcp_f32_e32 v14, v10
	v_rcp_f32_e32 v15, v13
	v_div_scale_f32 v22, s1, v12, v7, v12
	v_fma_f32 v19, -v10, v14, 1.0
	v_fma_f32 v20, -v13, v15, 1.0
	v_fmac_f32_e32 v14, v19, v14
	v_fmac_f32_e32 v15, v20, v15
	v_mul_f32_e32 v19, v21, v14
	v_mul_f32_e32 v20, v22, v15
	v_fma_f32 v24, -v10, v19, v21
	v_fma_f32 v25, -v13, v20, v22
	v_fmac_f32_e32 v19, v24, v14
	v_fmac_f32_e32 v20, v25, v15
	v_fma_f32 v10, -v10, v19, v21
	v_mul_f32_e32 v21, v26, v18
	v_fma_f32 v13, -v13, v20, v22
	v_div_fmas_f32 v10, v10, v14, v19
	s_mov_b32 vcc_lo, s1
	v_fma_f32 v14, -v17, v21, v26
	v_div_fmas_f32 v13, v13, v15, v20
	v_fmamk_f32 v15, v16, 0x3377d1cf, v23
	v_cmp_gt_f32_e64 vcc_lo, 0x7f800000, |v16|
	v_div_fixup_f32 v8, v10, v8, v11
	v_fmac_f32_e32 v21, v14, v18
	v_div_fixup_f32 v7, v13, v7, v12
	v_fmac_f32_e32 v15, 0x3f317217, v16
	v_fmaak_f32 v12, v9, v9, 0xc16ae95a
	v_fmaak_f32 v13, v9, v9, 0xc244dfb3
	v_fma_f32 v17, -v17, v21, v26
	v_mul_f32_e32 v7, v9, v7
	v_cndmask_b32_e32 v15, v16, v15, vcc_lo
	s_mov_b32 vcc_lo, s2
	v_cndmask_b32_e64 v14, 0, 0x41b17218, s0
	v_mul_f32_e32 v7, v12, v7
	v_div_fmas_f32 v12, v17, v18, v21
	v_sub_f32_e32 v14, v15, v14
	v_mul_f32_e32 v7, v13, v7
	v_div_fixup_f32 v12, v12, v9, -1.0
	v_fmac_f32_e32 v12, v14, v7
	v_mul_f32_e32 v7, 0x3f22f983, v12
	v_fmac_f32_e32 v7, v9, v8
.LBB22_1778:
	s_or_b32 exec_lo, exec_lo, s7
.LBB22_1779:
	s_or_b32 exec_lo, exec_lo, s6
                                        ; implicit-def: $vgpr9
.LBB22_1780:
	s_andn2_saveexec_b32 s5, s5
	s_cbranch_execz .LBB22_1835
; %bb.1781:
	v_add_f32_e32 v7, 0xc016cbe4, v9
                                        ; implicit-def: $vgpr11
                                        ; implicit-def: $vgpr10
	v_and_b32_e32 v8, 0x7fffffff, v7
	v_cmp_ngt_f32_e64 s2, 0x48000000, |v7|
	s_and_saveexec_b32 s0, s2
	s_xor_b32 s6, exec_lo, s0
	s_cbranch_execz .LBB22_1828
; %bb.1782:
	s_mov_b32 s0, 0x7fffff
	v_mov_b32_e32 v12, 0
	v_and_or_b32 v19, v8, s0, 0x800000
	v_lshrrev_b32_e32 v17, 23, v8
	v_mad_u64_u32 v[10:11], null, 0xfe5163ab, v19, 0
	v_add_nc_u32_e32 v18, 0xffffff88, v17
	v_cmp_lt_u32_e32 vcc_lo, 63, v18
	v_mad_u64_u32 v[13:14], null, 0x3c439041, v19, v[11:12]
	v_cndmask_b32_e64 v20, 0, 0xffffffc0, vcc_lo
	v_mov_b32_e32 v11, v14
	v_add_nc_u32_e32 v20, v20, v18
	v_mad_u64_u32 v[14:15], null, 0xdb629599, v19, v[11:12]
	v_cmp_lt_u32_e64 s0, 31, v20
	v_cndmask_b32_e64 v21, 0, 0xffffffe0, s0
	v_mov_b32_e32 v11, v15
	v_cndmask_b32_e32 v10, v14, v10, vcc_lo
	v_mad_u64_u32 v[15:16], null, 0xf534ddc0, v19, v[11:12]
	v_mov_b32_e32 v11, v16
	v_cndmask_b32_e32 v13, v15, v13, vcc_lo
	v_mad_u64_u32 v[16:17], null, 0xfc2757d1, v19, v[11:12]
	v_cndmask_b32_e64 v10, v13, v10, s0
	v_mov_b32_e32 v11, v17
	v_mad_u64_u32 v[17:18], null, 0x4e441529, v19, v[11:12]
	v_mov_b32_e32 v11, v18
	v_add_nc_u32_e32 v18, v21, v20
	v_cndmask_b32_e32 v20, v17, v15, vcc_lo
	v_mad_u64_u32 v[11:12], null, 0xa2f9836e, v19, v[11:12]
	v_cmp_lt_u32_e64 s1, 31, v18
	v_cndmask_b32_e64 v19, 0, 0xffffffe0, s1
	v_cndmask_b32_e32 v11, v11, v16, vcc_lo
	v_cndmask_b32_e32 v12, v12, v17, vcc_lo
	;; [unrolled: 1-line block ×3, first 2 shown]
	v_add_nc_u32_e32 v17, v19, v18
	v_cndmask_b32_e64 v15, v11, v20, s0
	v_cndmask_b32_e64 v11, v12, v11, s0
	;; [unrolled: 1-line block ×4, first 2 shown]
	v_sub_nc_u32_e32 v18, 32, v17
	v_cmp_eq_u32_e32 vcc_lo, 0, v17
	v_cndmask_b32_e64 v11, v11, v15, s1
	v_cndmask_b32_e64 v15, v15, v12, s1
	;; [unrolled: 1-line block ×4, first 2 shown]
	v_alignbit_b32 v19, v11, v15, v18
	v_alignbit_b32 v14, v15, v12, v18
	v_alignbit_b32 v17, v12, v10, v18
	v_cndmask_b32_e32 v11, v19, v11, vcc_lo
	v_cndmask_b32_e32 v13, v14, v15, vcc_lo
	;; [unrolled: 1-line block ×3, first 2 shown]
	v_bfe_u32 v14, v11, 29, 1
	v_alignbit_b32 v15, v11, v13, 30
	v_alignbit_b32 v13, v13, v12, 30
	v_alignbit_b32 v10, v12, v10, 30
	v_sub_nc_u32_e32 v16, 0, v14
	v_xor_b32_e32 v15, v15, v16
	v_xor_b32_e32 v12, v13, v16
	;; [unrolled: 1-line block ×3, first 2 shown]
	v_lshrrev_b32_e32 v16, 29, v11
	v_lshrrev_b32_e32 v11, 30, v11
	v_ffbh_u32_e32 v17, v15
	v_add_nc_u32_e32 v11, v14, v11
	v_min_u32_e32 v17, 32, v17
	v_sub_nc_u32_e32 v13, 31, v17
	v_lshlrev_b32_e32 v18, 23, v17
	v_alignbit_b32 v15, v15, v12, v13
	v_alignbit_b32 v10, v12, v10, v13
	v_lshlrev_b32_e32 v12, 31, v16
	v_alignbit_b32 v13, v15, v10, 9
	v_or_b32_e32 v16, 0.5, v12
	v_lshrrev_b32_e32 v15, 9, v15
	v_or_b32_e32 v12, 0x33000000, v12
	v_ffbh_u32_e32 v19, v13
	v_sub_nc_u32_e32 v16, v16, v18
	v_min_u32_e32 v18, 32, v19
	v_or_b32_e32 v15, v15, v16
	v_not_b32_e32 v16, v18
	v_mul_f32_e32 v19, 0x3fc90fda, v15
	v_add_lshl_u32 v17, v18, v17, 23
	v_alignbit_b32 v10, v13, v10, v16
	v_fma_f32 v13, 0x3fc90fda, v15, -v19
	v_sub_nc_u32_e32 v12, v12, v17
	v_lshrrev_b32_e32 v10, 9, v10
	v_fmamk_f32 v13, v15, 0x33a22168, v13
	v_or_b32_e32 v10, v12, v10
	v_fmac_f32_e32 v13, 0x3fc90fda, v10
	v_add_f32_e32 v10, v19, v13
	s_andn2_saveexec_b32 s0, s6
	s_branch .LBB22_1829
.LBB22_1783:
	s_mov_b32 s0, 0
	s_mov_b32 s4, 0
                                        ; implicit-def: $vgpr0_vgpr1
                                        ; implicit-def: $sgpr1
                                        ; implicit-def: $vgpr7
.LBB22_1784:
	s_andn2_b32 s2, s12, exec_lo
	s_and_b32 s3, s3, exec_lo
	s_and_b32 s0, s0, exec_lo
	;; [unrolled: 1-line block ×3, first 2 shown]
	s_or_b32 s12, s2, s3
.LBB22_1785:
	s_or_b32 exec_lo, exec_lo, s13
	s_and_saveexec_b32 s2, s12
	s_cbranch_execz .LBB22_1788
; %bb.1786:
	; divergent unreachable
	s_or_b32 exec_lo, exec_lo, s2
	s_and_saveexec_b32 s2, s26
	s_xor_b32 s2, exec_lo, s2
	s_cbranch_execnz .LBB22_1789
.LBB22_1787:
	s_or_b32 exec_lo, exec_lo, s2
	s_and_saveexec_b32 s2, s0
	s_cbranch_execnz .LBB22_1790
	s_branch .LBB22_1827
.LBB22_1788:
	s_or_b32 exec_lo, exec_lo, s2
	s_and_saveexec_b32 s2, s26
	s_xor_b32 s2, exec_lo, s2
	s_cbranch_execz .LBB22_1787
.LBB22_1789:
	v_cmp_neq_f32_e32 vcc_lo, 0, v7
	v_cndmask_b32_e64 v2, 0, 1, vcc_lo
	s_waitcnt vmcnt(0)
	global_store_byte v[0:1], v2, off
	s_or_b32 exec_lo, exec_lo, s2
	s_and_saveexec_b32 s2, s0
	s_cbranch_execz .LBB22_1827
.LBB22_1790:
	s_sext_i32_i16 s2, s1
	s_mov_b32 s0, -1
	s_cmp_lt_i32 s2, 5
	s_cbranch_scc1 .LBB22_1811
; %bb.1791:
	s_cmp_lt_i32 s2, 8
	s_cbranch_scc1 .LBB22_1801
; %bb.1792:
	;; [unrolled: 3-line block ×3, first 2 shown]
	s_cmp_gt_i32 s2, 9
	s_cbranch_scc0 .LBB22_1795
; %bb.1794:
	s_waitcnt vmcnt(0)
	v_cvt_f64_f32_e32 v[2:3], v7
	v_mov_b32_e32 v4, 0
	s_mov_b32 s0, 0
	v_mov_b32_e32 v5, v4
	global_store_dwordx4 v[0:1], v[2:5], off
.LBB22_1795:
	s_andn2_b32 vcc_lo, exec_lo, s0
	s_cbranch_vccnz .LBB22_1797
; %bb.1796:
	v_mov_b32_e32 v8, 0
	s_waitcnt vmcnt(0)
	global_store_dwordx2 v[0:1], v[7:8], off
.LBB22_1797:
	s_mov_b32 s0, 0
.LBB22_1798:
	s_andn2_b32 vcc_lo, exec_lo, s0
	s_cbranch_vccnz .LBB22_1800
; %bb.1799:
	v_cvt_f16_f32_e32 v2, v7
	v_and_b32_e32 v2, 0xffff, v2
	s_waitcnt vmcnt(0)
	global_store_dword v[0:1], v2, off
.LBB22_1800:
	s_mov_b32 s0, 0
.LBB22_1801:
	s_andn2_b32 vcc_lo, exec_lo, s0
	s_cbranch_vccnz .LBB22_1810
; %bb.1802:
	s_sext_i32_i16 s2, s1
	s_mov_b32 s0, -1
	s_cmp_lt_i32 s2, 6
	s_cbranch_scc1 .LBB22_1808
; %bb.1803:
	s_cmp_gt_i32 s2, 6
	s_cbranch_scc0 .LBB22_1805
; %bb.1804:
	s_waitcnt vmcnt(0)
	v_cvt_f64_f32_e32 v[2:3], v7
	s_mov_b32 s0, 0
	global_store_dwordx2 v[0:1], v[2:3], off
.LBB22_1805:
	s_andn2_b32 vcc_lo, exec_lo, s0
	s_cbranch_vccnz .LBB22_1807
; %bb.1806:
	s_waitcnt vmcnt(0)
	global_store_dword v[0:1], v7, off
.LBB22_1807:
	s_mov_b32 s0, 0
.LBB22_1808:
	s_andn2_b32 vcc_lo, exec_lo, s0
	s_cbranch_vccnz .LBB22_1810
; %bb.1809:
	v_cvt_f16_f32_e32 v2, v7
	s_waitcnt vmcnt(0)
	global_store_short v[0:1], v2, off
.LBB22_1810:
	s_mov_b32 s0, 0
.LBB22_1811:
	s_andn2_b32 vcc_lo, exec_lo, s0
	s_cbranch_vccnz .LBB22_1827
; %bb.1812:
	s_sext_i32_i16 s2, s1
	s_mov_b32 s0, -1
	s_cmp_lt_i32 s2, 2
	s_cbranch_scc1 .LBB22_1822
; %bb.1813:
	s_cmp_lt_i32 s2, 3
	s_cbranch_scc1 .LBB22_1819
; %bb.1814:
	s_cmp_gt_i32 s2, 3
	s_cbranch_scc0 .LBB22_1816
; %bb.1815:
	v_trunc_f32_e32 v2, v7
	s_mov_b32 s0, 0
	s_waitcnt vmcnt(0)
	v_mul_f32_e64 v3, 0x2f800000, |v2|
	v_ashrrev_i32_e32 v5, 31, v2
	v_floor_f32_e32 v3, v3
	v_fma_f32 v4, 0xcf800000, v3, |v2|
	v_cvt_u32_f32_e32 v3, v3
	v_cvt_u32_f32_e32 v2, v4
	v_xor_b32_e32 v3, v3, v5
	v_xor_b32_e32 v2, v2, v5
	v_sub_co_u32 v2, vcc_lo, v2, v5
	v_sub_co_ci_u32_e64 v3, null, v3, v5, vcc_lo
	global_store_dwordx2 v[0:1], v[2:3], off
.LBB22_1816:
	s_andn2_b32 vcc_lo, exec_lo, s0
	s_cbranch_vccnz .LBB22_1818
; %bb.1817:
	v_cvt_i32_f32_e32 v2, v7
	s_waitcnt vmcnt(0)
	global_store_dword v[0:1], v2, off
.LBB22_1818:
	s_mov_b32 s0, 0
.LBB22_1819:
	s_andn2_b32 vcc_lo, exec_lo, s0
	s_cbranch_vccnz .LBB22_1821
; %bb.1820:
	v_cvt_i32_f32_e32 v2, v7
	s_waitcnt vmcnt(0)
	global_store_short v[0:1], v2, off
.LBB22_1821:
	s_mov_b32 s0, 0
.LBB22_1822:
	s_andn2_b32 vcc_lo, exec_lo, s0
	s_cbranch_vccnz .LBB22_1827
; %bb.1823:
	s_sext_i32_i16 s0, s1
	s_cmp_gt_i32 s0, 0
	s_mov_b32 s0, -1
	s_cbranch_scc0 .LBB22_1825
; %bb.1824:
	v_cvt_i32_f32_e32 v2, v7
	s_mov_b32 s0, 0
	s_waitcnt vmcnt(0)
	global_store_byte v[0:1], v2, off
.LBB22_1825:
	s_andn2_b32 vcc_lo, exec_lo, s0
	s_cbranch_vccnz .LBB22_1827
; %bb.1826:
	v_trunc_f32_e32 v2, v7
	s_waitcnt vmcnt(0)
	v_mul_f32_e64 v3, 0x2f800000, |v2|
	v_floor_f32_e32 v3, v3
	v_fma_f32 v3, 0xcf800000, v3, |v2|
	v_ashrrev_i32_e32 v2, 31, v2
	v_cvt_u32_f32_e32 v3, v3
	v_xor_b32_e32 v3, v3, v2
	v_sub_nc_u32_e32 v2, v3, v2
	global_store_byte v[0:1], v2, off
	s_endpgm
.LBB22_1827:
	s_endpgm
.LBB22_1828:
	s_andn2_saveexec_b32 s0, s6
.LBB22_1829:
	v_mul_f32_e64 v10, 0x3f22f983, |v7|
	v_rndne_f32_e32 v11, v10
	v_fma_f32 v10, 0xbfc90fda, v11, |v7|
	v_fmamk_f32 v10, v11, 0xb3a22168, v10
	v_fmamk_f32 v10, v11, 0xa7c234c4, v10
	v_cvt_i32_f32_e32 v11, v11
; %bb.1830:
	s_or_b32 exec_lo, exec_lo, s0
                                        ; implicit-def: $vgpr13
                                        ; implicit-def: $vgpr12
	s_and_saveexec_b32 s0, s2
	s_xor_b32 s2, exec_lo, s0
	s_cbranch_execz .LBB22_1832
; %bb.1831:
	s_mov_b32 s0, 0x7fffff
	v_mov_b32_e32 v14, 0
	v_and_or_b32 v21, v8, s0, 0x800000
	v_lshrrev_b32_e32 v19, 23, v8
	v_mad_u64_u32 v[12:13], null, 0xfe5163ab, v21, 0
	v_add_nc_u32_e32 v20, 0xffffff88, v19
	v_cmp_lt_u32_e32 vcc_lo, 63, v20
	v_mad_u64_u32 v[15:16], null, 0x3c439041, v21, v[13:14]
	v_cndmask_b32_e64 v22, 0, 0xffffffc0, vcc_lo
	v_mov_b32_e32 v13, v16
	v_add_nc_u32_e32 v22, v22, v20
	v_mad_u64_u32 v[16:17], null, 0xdb629599, v21, v[13:14]
	v_cmp_lt_u32_e64 s0, 31, v22
	v_cndmask_b32_e64 v23, 0, 0xffffffe0, s0
	v_mov_b32_e32 v13, v17
	v_cndmask_b32_e32 v12, v16, v12, vcc_lo
	v_mad_u64_u32 v[17:18], null, 0xf534ddc0, v21, v[13:14]
	v_mov_b32_e32 v13, v18
	v_cndmask_b32_e32 v15, v17, v15, vcc_lo
	v_mad_u64_u32 v[18:19], null, 0xfc2757d1, v21, v[13:14]
	v_cndmask_b32_e64 v12, v15, v12, s0
	v_mov_b32_e32 v13, v19
	v_mad_u64_u32 v[19:20], null, 0x4e441529, v21, v[13:14]
	v_mov_b32_e32 v13, v20
	v_add_nc_u32_e32 v20, v23, v22
	v_cndmask_b32_e32 v22, v19, v17, vcc_lo
	v_mad_u64_u32 v[13:14], null, 0xa2f9836e, v21, v[13:14]
	v_cmp_lt_u32_e64 s1, 31, v20
	v_cndmask_b32_e64 v21, 0, 0xffffffe0, s1
	v_cndmask_b32_e32 v13, v13, v18, vcc_lo
	v_cndmask_b32_e32 v14, v14, v19, vcc_lo
	;; [unrolled: 1-line block ×3, first 2 shown]
	v_add_nc_u32_e32 v19, v21, v20
	v_cndmask_b32_e64 v17, v13, v22, s0
	v_cndmask_b32_e64 v13, v14, v13, s0
	;; [unrolled: 1-line block ×4, first 2 shown]
	v_sub_nc_u32_e32 v20, 32, v19
	v_cmp_eq_u32_e32 vcc_lo, 0, v19
	v_cndmask_b32_e64 v13, v13, v17, s1
	v_cndmask_b32_e64 v17, v17, v14, s1
	;; [unrolled: 1-line block ×4, first 2 shown]
	v_alignbit_b32 v21, v13, v17, v20
	v_alignbit_b32 v16, v17, v14, v20
	;; [unrolled: 1-line block ×3, first 2 shown]
	v_cndmask_b32_e32 v13, v21, v13, vcc_lo
	v_cndmask_b32_e32 v15, v16, v17, vcc_lo
	;; [unrolled: 1-line block ×3, first 2 shown]
	v_bfe_u32 v16, v13, 29, 1
	v_alignbit_b32 v17, v13, v15, 30
	v_alignbit_b32 v15, v15, v14, 30
	;; [unrolled: 1-line block ×3, first 2 shown]
	v_sub_nc_u32_e32 v18, 0, v16
	v_xor_b32_e32 v17, v17, v18
	v_xor_b32_e32 v14, v15, v18
	;; [unrolled: 1-line block ×3, first 2 shown]
	v_lshrrev_b32_e32 v18, 29, v13
	v_lshrrev_b32_e32 v13, 30, v13
	v_ffbh_u32_e32 v19, v17
	v_add_nc_u32_e32 v13, v16, v13
	v_min_u32_e32 v19, 32, v19
	v_sub_nc_u32_e32 v15, 31, v19
	v_lshlrev_b32_e32 v20, 23, v19
	v_alignbit_b32 v17, v17, v14, v15
	v_alignbit_b32 v12, v14, v12, v15
	v_lshlrev_b32_e32 v14, 31, v18
	v_alignbit_b32 v15, v17, v12, 9
	v_or_b32_e32 v18, 0.5, v14
	v_lshrrev_b32_e32 v17, 9, v17
	v_or_b32_e32 v14, 0x33000000, v14
	v_ffbh_u32_e32 v21, v15
	v_sub_nc_u32_e32 v18, v18, v20
	v_min_u32_e32 v20, 32, v21
	v_or_b32_e32 v17, v17, v18
	v_not_b32_e32 v18, v20
	v_mul_f32_e32 v21, 0x3fc90fda, v17
	v_add_lshl_u32 v19, v20, v19, 23
	v_alignbit_b32 v12, v15, v12, v18
	v_fma_f32 v15, 0x3fc90fda, v17, -v21
	v_sub_nc_u32_e32 v14, v14, v19
	v_lshrrev_b32_e32 v12, 9, v12
	v_fmamk_f32 v15, v17, 0x33a22168, v15
	v_or_b32_e32 v12, v14, v12
	v_fmac_f32_e32 v15, 0x3fc90fda, v12
	v_add_f32_e32 v12, v21, v15
	s_andn2_saveexec_b32 s0, s2
	s_cbranch_execnz .LBB22_1833
	s_branch .LBB22_1834
.LBB22_1832:
	s_andn2_saveexec_b32 s0, s2
.LBB22_1833:
	v_mul_f32_e64 v12, 0x3f22f983, |v7|
	v_rndne_f32_e32 v13, v12
	v_fma_f32 v12, 0xbfc90fda, v13, |v7|
	v_fmamk_f32 v12, v13, 0xb3a22168, v12
	v_fmamk_f32 v12, v13, 0xa7c234c4, v12
	v_cvt_i32_f32_e32 v13, v13
.LBB22_1834:
	s_or_b32 exec_lo, exec_lo, s0
	v_div_scale_f32 v14, null, v9, v9, 0x40a00000
	v_div_scale_f32 v17, vcc_lo, 0x40a00000, v9, 0x40a00000
	s_mov_b32 s0, 0xb94c1982
	v_rcp_f32_e32 v15, v14
	v_mul_f32_e32 v24, 0x4f800000, v9
	s_mov_b32 s1, 0x37d75334
	v_and_b32_e32 v19, 1, v13
	v_xor_b32_e32 v8, v8, v7
	v_lshlrev_b32_e32 v13, 30, v13
	v_and_b32_e32 v13, 0x80000000, v13
	v_fma_f32 v16, -v14, v15, 1.0
	v_fmac_f32_e32 v15, v16, v15
	v_mul_f32_e32 v16, v17, v15
	v_fma_f32 v18, -v14, v16, v17
	v_fmac_f32_e32 v16, v18, v15
	v_mul_f32_e32 v18, v12, v12
	v_fma_f32 v14, -v14, v16, v17
	v_fmaak_f32 v27, s0, v18, 0x3c0881c4
	v_fmaak_f32 v28, s1, v18, 0xbab64f3b
	v_div_fmas_f32 v14, v14, v15, v16
	v_mul_f32_e32 v15, v10, v10
	v_fmaak_f32 v28, v18, v28, 0x3d2aabf7
	v_and_b32_e32 v16, 1, v11
	v_fmaak_f32 v27, v18, v27, 0xbe2aaa9d
	v_div_fixup_f32 v14, v14, v9, 0x40a00000
	v_fmaak_f32 v25, s0, v15, 0x3c0881c4
	v_cmp_gt_f32_e64 s0, 0xf800000, v9
	v_fmaak_f32 v26, s1, v15, 0xbab64f3b
	v_fmaak_f32 v28, v18, v28, 0xbf000004
	v_mul_f32_e32 v17, v14, v14
	v_fmaak_f32 v25, v15, v25, 0xbe2aaa9d
	v_cndmask_b32_e64 v9, v9, v24, s0
	v_fmaak_f32 v26, v15, v26, 0x3d2aabf7
	v_mul_f32_e32 v27, v18, v27
	v_fmaak_f32 v20, 0, v17, 0x3d513fd3
	v_fmaak_f32 v21, 0, v17, 0x3a15c4d9
	;; [unrolled: 1-line block ×4, first 2 shown]
	v_mul_f32_e32 v25, v15, v25
	v_fmaak_f32 v20, v17, v20, 0x409f6dae
	v_fmaak_f32 v21, v17, v21, 0x3d8cfeeb
	;; [unrolled: 1-line block ×9, first 2 shown]
	v_fmac_f32_e32 v10, v10, v25
	v_fmaak_f32 v20, v17, v20, 0x43b763ca
	v_fmaak_f32 v21, v17, v21, 0x40a25d18
	;; [unrolled: 1-line block ×4, first 2 shown]
	v_sqrt_f32_e32 v31, v9
	v_fmaak_f32 v20, v17, v20, 0x4431b6ce
	v_fmaak_f32 v21, v17, v21, 0x410665cf
	;; [unrolled: 1-line block ×4, first 2 shown]
	v_fma_f32 v15, v15, v26, 1.0
	v_fmaak_f32 v20, v17, v20, 0x44155f56
	v_fmaak_f32 v21, v17, v21, 0x40a6b6ea
	v_fmaak_f32 v22, v17, v22, 0x40a6dd51
	v_fmaak_f32 v23, v17, v23, 0x4530a316
	v_fma_f32 v18, v18, v28, 1.0
	v_fmaak_f32 v20, v17, v20, 0x4353b052
	v_fma_f32 v21, v17, v21, 1.0
	v_fma_f32 v22, v17, v22, 1.0
	v_fmaak_f32 v23, v17, v23, 0x43a80bfb
	v_cmp_eq_u32_e64 s2, 0, v16
	v_fmaak_f32 v17, v17, v20, 0x41c9a7fa
	v_lshlrev_b32_e32 v11, 30, v11
	v_div_scale_f32 v20, null, v21, v21, v22
	v_div_scale_f32 v34, vcc_lo, v22, v21, v22
	v_div_scale_f32 v29, null, v23, v23, v17
	v_rcp_f32_e32 v24, v20
	v_fmac_f32_e32 v12, v12, v27
	v_cndmask_b32_e64 v10, v15, v10, s2
	v_rcp_f32_e32 v30, v29
	v_cmp_eq_u32_e64 s2, 0, v19
	v_and_b32_e32 v11, 0x80000000, v11
	v_add_nc_u32_e32 v27, -1, v31
	v_cndmask_b32_e64 v12, -v12, v18, s2
	v_fma_f32 v32, -v20, v24, 1.0
	v_fma_f32 v15, -v27, v31, v9
	v_xor3_b32 v8, v8, v11, v10
	v_fma_f32 v33, -v29, v30, 1.0
	v_xor_b32_e32 v12, v13, v12
	v_fmac_f32_e32 v24, v32, v24
	v_div_scale_f32 v32, s1, v17, v23, v17
	v_fmac_f32_e32 v30, v33, v30
	v_add_nc_u32_e32 v33, 1, v31
	v_mul_f32_e32 v25, v34, v24
	v_mul_f32_e32 v26, v32, v30
	v_fma_f32 v16, -v33, v31, v9
	v_fma_f32 v28, -v20, v25, v34
	;; [unrolled: 1-line block ×3, first 2 shown]
	v_fmac_f32_e32 v25, v28, v24
	v_fmac_f32_e32 v26, v35, v30
	v_fma_f32 v18, -v20, v25, v34
	v_fma_f32 v10, -v29, v26, v32
	v_div_fmas_f32 v11, v18, v24, v25
	s_mov_b32 vcc_lo, s1
	v_cmp_ge_f32_e64 s1, 0, v15
	v_div_fmas_f32 v10, v10, v30, v26
	v_cmp_class_f32_e64 vcc_lo, v7, 0x1f8
	v_div_fixup_f32 v11, v11, v21, v22
	v_cndmask_b32_e64 v7, v31, v27, s1
	v_div_fixup_f32 v10, v10, v23, v17
	v_cmp_lt_f32_e64 s1, 0, v16
	v_cndmask_b32_e32 v12, 0x7fc00000, v12, vcc_lo
	v_cndmask_b32_e32 v8, 0x7fc00000, v8, vcc_lo
	v_cmp_class_f32_e64 vcc_lo, v9, 0x260
	v_mul_f32_e32 v10, v14, v10
	v_cndmask_b32_e64 v7, v7, v33, s1
	v_mul_f32_e32 v10, v10, v12
	v_mul_f32_e32 v13, 0x37800000, v7
	v_fmac_f32_e32 v10, v11, v8
	v_cndmask_b32_e64 v7, v7, v13, s0
	v_mul_f32_e32 v8, 0x3f4c422a, v10
	v_cndmask_b32_e32 v7, v7, v9, vcc_lo
	v_div_scale_f32 v9, null, v7, v7, v8
	v_rcp_f32_e32 v10, v9
	v_fma_f32 v11, -v9, v10, 1.0
	v_fmac_f32_e32 v10, v11, v10
	v_div_scale_f32 v11, vcc_lo, v8, v7, v8
	v_mul_f32_e32 v12, v11, v10
	v_fma_f32 v13, -v9, v12, v11
	v_fmac_f32_e32 v12, v13, v10
	v_fma_f32 v9, -v9, v12, v11
	v_div_fmas_f32 v9, v9, v10, v12
	v_div_fixup_f32 v7, v9, v7, v8
.LBB22_1835:
	s_or_b32 exec_lo, exec_lo, s5
	v_add_co_u32 v8, s0, s8, v6
	v_add_co_ci_u32_e64 v9, null, s9, 0, s0
	s_bfe_u32 s1, s4, 0x80008
	s_cmp_lt_i32 s1, 11
	s_cbranch_scc1 .LBB22_1913
; %bb.1836:
	s_and_b32 s2, 0xffff, s1
	s_mov_b32 s7, -1
	s_mov_b32 s5, 0
	s_cmp_gt_i32 s2, 25
	s_mov_b32 s6, 0
	s_mov_b32 s0, 0
	s_cbranch_scc0 .LBB22_1869
; %bb.1837:
	s_cmp_gt_i32 s2, 28
	s_cbranch_scc0 .LBB22_1852
; %bb.1838:
	s_cmp_gt_i32 s2, 43
	;; [unrolled: 3-line block ×3, first 2 shown]
	s_cbranch_scc0 .LBB22_1842
; %bb.1840:
	s_mov_b32 s0, -1
	s_mov_b32 s7, 0
	s_cmp_eq_u32 s2, 46
	s_cbranch_scc0 .LBB22_1842
; %bb.1841:
	v_bfe_u32 v6, v5, 16, 1
	v_cmp_o_f32_e32 vcc_lo, v5, v5
	v_mov_b32_e32 v10, 0x7fc0
	s_mov_b32 s0, 0
	s_mov_b32 s6, -1
	v_add3_u32 v6, v5, v6, 0x7fff
	v_cndmask_b32_sdwa v6, v10, v6, vcc_lo dst_sel:DWORD dst_unused:UNUSED_PAD src0_sel:DWORD src1_sel:WORD_1
	global_store_dword v[8:9], v6, off
.LBB22_1842:
	s_and_b32 vcc_lo, exec_lo, s7
	s_cbranch_vccz .LBB22_1847
; %bb.1843:
	s_cmp_eq_u32 s2, 44
	s_mov_b32 s0, -1
	s_cbranch_scc0 .LBB22_1847
; %bb.1844:
	v_bfe_u32 v10, v5, 23, 8
	v_mov_b32_e32 v6, 0xff
	s_mov_b32 s6, exec_lo
	v_cmpx_ne_u32_e32 0xff, v10
	s_cbranch_execz .LBB22_1846
; %bb.1845:
	v_and_b32_e32 v6, 0x400000, v5
	v_and_or_b32 v10, 0x3fffff, v5, v10
	v_cmp_ne_u32_e32 vcc_lo, 0, v6
	v_cmp_ne_u32_e64 s0, 0, v10
	v_lshrrev_b32_e32 v6, 23, v5
	s_and_b32 s0, vcc_lo, s0
	v_cndmask_b32_e64 v10, 0, 1, s0
	v_add_nc_u32_e32 v6, v6, v10
.LBB22_1846:
	s_or_b32 exec_lo, exec_lo, s6
	s_mov_b32 s0, 0
	s_mov_b32 s6, -1
	global_store_byte v[8:9], v6, off
.LBB22_1847:
	s_mov_b32 s7, 0
.LBB22_1848:
	s_and_b32 vcc_lo, exec_lo, s7
	s_cbranch_vccz .LBB22_1851
; %bb.1849:
	s_cmp_eq_u32 s2, 29
	s_mov_b32 s0, -1
	s_cbranch_scc0 .LBB22_1851
; %bb.1850:
	v_trunc_f32_e32 v6, v5
	s_mov_b32 s0, 0
	s_mov_b32 s6, -1
	v_mul_f32_e32 v10, 0x2f800000, v6
	v_floor_f32_e32 v10, v10
	v_fmamk_f32 v6, v10, 0xcf800000, v6
	v_cvt_u32_f32_e32 v11, v10
	v_cvt_u32_f32_e32 v10, v6
	global_store_dwordx2 v[8:9], v[10:11], off
.LBB22_1851:
	s_mov_b32 s7, 0
.LBB22_1852:
	s_and_b32 vcc_lo, exec_lo, s7
	s_cbranch_vccz .LBB22_1868
; %bb.1853:
	s_cmp_lt_i32 s2, 27
	s_mov_b32 s6, -1
	s_cbranch_scc1 .LBB22_1859
; %bb.1854:
	v_cvt_u32_f32_e32 v6, v5
	s_cmp_gt_i32 s2, 27
	s_cbranch_scc0 .LBB22_1856
; %bb.1855:
	s_mov_b32 s6, 0
	global_store_dword v[8:9], v6, off
.LBB22_1856:
	s_andn2_b32 vcc_lo, exec_lo, s6
	s_cbranch_vccnz .LBB22_1858
; %bb.1857:
	global_store_short v[8:9], v6, off
.LBB22_1858:
	s_mov_b32 s6, 0
.LBB22_1859:
	s_andn2_b32 vcc_lo, exec_lo, s6
	s_cbranch_vccnz .LBB22_1867
; %bb.1860:
	v_and_b32_e32 v6, 0x7fffffff, v5
	v_mov_b32_e32 v10, 0x80
	s_mov_b32 s6, exec_lo
	v_cmpx_gt_u32_e32 0x43800000, v6
	s_cbranch_execz .LBB22_1866
; %bb.1861:
	v_cmp_lt_u32_e32 vcc_lo, 0x3bffffff, v6
	s_mov_b32 s7, 0
                                        ; implicit-def: $vgpr6
	s_and_saveexec_b32 s10, vcc_lo
	s_xor_b32 s10, exec_lo, s10
	s_cbranch_execz .LBB22_2271
; %bb.1862:
	v_bfe_u32 v6, v5, 20, 1
	s_mov_b32 s7, exec_lo
	v_add3_u32 v6, v5, v6, 0x487ffff
	v_lshrrev_b32_e32 v6, 20, v6
	s_andn2_saveexec_b32 s10, s10
	s_cbranch_execnz .LBB22_2272
.LBB22_1863:
	s_or_b32 exec_lo, exec_lo, s10
	v_mov_b32_e32 v10, 0
	s_and_saveexec_b32 s10, s7
.LBB22_1864:
	v_lshrrev_b32_e32 v10, 24, v5
	v_and_or_b32 v10, 0x80, v10, v6
.LBB22_1865:
	s_or_b32 exec_lo, exec_lo, s10
.LBB22_1866:
	s_or_b32 exec_lo, exec_lo, s6
	global_store_byte v[8:9], v10, off
.LBB22_1867:
	s_mov_b32 s6, -1
.LBB22_1868:
	s_mov_b32 s7, 0
.LBB22_1869:
	s_and_b32 vcc_lo, exec_lo, s7
	s_cbranch_vccz .LBB22_1909
; %bb.1870:
	s_cmp_gt_i32 s2, 22
	s_mov_b32 s5, -1
	s_cbranch_scc0 .LBB22_1902
; %bb.1871:
	s_cmp_lt_i32 s2, 24
	s_cbranch_scc1 .LBB22_1891
; %bb.1872:
	s_cmp_gt_i32 s2, 24
	s_cbranch_scc0 .LBB22_1880
; %bb.1873:
	v_and_b32_e32 v6, 0x7fffffff, v5
	v_mov_b32_e32 v10, 0x80
	s_mov_b32 s5, exec_lo
	v_cmpx_gt_u32_e32 0x47800000, v6
	s_cbranch_execz .LBB22_1879
; %bb.1874:
	v_cmp_lt_u32_e32 vcc_lo, 0x37ffffff, v6
	s_mov_b32 s6, 0
                                        ; implicit-def: $vgpr6
	s_and_saveexec_b32 s7, vcc_lo
	s_xor_b32 s7, exec_lo, s7
	s_cbranch_execz .LBB22_2274
; %bb.1875:
	v_bfe_u32 v6, v5, 21, 1
	s_mov_b32 s6, exec_lo
	v_add3_u32 v6, v5, v6, 0x88fffff
	v_lshrrev_b32_e32 v6, 21, v6
	s_andn2_saveexec_b32 s7, s7
	s_cbranch_execnz .LBB22_2275
.LBB22_1876:
	s_or_b32 exec_lo, exec_lo, s7
	v_mov_b32_e32 v10, 0
	s_and_saveexec_b32 s7, s6
.LBB22_1877:
	v_lshrrev_b32_e32 v10, 24, v5
	v_and_or_b32 v10, 0x80, v10, v6
.LBB22_1878:
	s_or_b32 exec_lo, exec_lo, s7
.LBB22_1879:
	s_or_b32 exec_lo, exec_lo, s5
	s_mov_b32 s5, 0
	global_store_byte v[8:9], v10, off
.LBB22_1880:
	s_and_b32 vcc_lo, exec_lo, s5
	s_cbranch_vccz .LBB22_1890
; %bb.1881:
	v_and_b32_e32 v10, 0x7fffffff, v5
	s_mov_b32 s5, exec_lo
                                        ; implicit-def: $vgpr6
	v_cmpx_gt_u32_e32 0x43f00000, v10
	s_xor_b32 s5, exec_lo, s5
	s_cbranch_execz .LBB22_1887
; %bb.1882:
	s_mov_b32 s6, exec_lo
                                        ; implicit-def: $vgpr6
	v_cmpx_lt_u32_e32 0x3c7fffff, v10
	s_xor_b32 s6, exec_lo, s6
; %bb.1883:
	v_bfe_u32 v6, v5, 20, 1
	v_add3_u32 v6, v5, v6, 0x407ffff
	v_and_b32_e32 v10, 0xff00000, v6
	v_lshrrev_b32_e32 v6, 20, v6
	v_cmp_ne_u32_e32 vcc_lo, 0x7f00000, v10
	v_cndmask_b32_e32 v6, 0x7e, v6, vcc_lo
; %bb.1884:
	s_andn2_saveexec_b32 s6, s6
; %bb.1885:
	v_add_f32_e64 v6, 0x46800000, |v5|
; %bb.1886:
	s_or_b32 exec_lo, exec_lo, s6
                                        ; implicit-def: $vgpr10
.LBB22_1887:
	s_andn2_saveexec_b32 s5, s5
; %bb.1888:
	v_mov_b32_e32 v6, 0x7f
	v_cmp_lt_u32_e32 vcc_lo, 0x7f800000, v10
	v_cndmask_b32_e32 v6, 0x7e, v6, vcc_lo
; %bb.1889:
	s_or_b32 exec_lo, exec_lo, s5
	v_lshrrev_b32_e32 v10, 24, v5
	v_and_or_b32 v6, 0x80, v10, v6
	global_store_byte v[8:9], v6, off
.LBB22_1890:
	s_mov_b32 s5, 0
.LBB22_1891:
	s_andn2_b32 vcc_lo, exec_lo, s5
	s_cbranch_vccnz .LBB22_1901
; %bb.1892:
	v_and_b32_e32 v10, 0x7fffffff, v5
	s_mov_b32 s5, exec_lo
                                        ; implicit-def: $vgpr6
	v_cmpx_gt_u32_e32 0x47800000, v10
	s_xor_b32 s5, exec_lo, s5
	s_cbranch_execz .LBB22_1898
; %bb.1893:
	s_mov_b32 s6, exec_lo
                                        ; implicit-def: $vgpr6
	v_cmpx_lt_u32_e32 0x387fffff, v10
	s_xor_b32 s6, exec_lo, s6
; %bb.1894:
	v_bfe_u32 v6, v5, 21, 1
	v_add3_u32 v6, v5, v6, 0x80fffff
	v_lshrrev_b32_e32 v6, 21, v6
; %bb.1895:
	s_andn2_saveexec_b32 s6, s6
; %bb.1896:
	v_add_f32_e64 v6, 0x43000000, |v5|
; %bb.1897:
	s_or_b32 exec_lo, exec_lo, s6
                                        ; implicit-def: $vgpr10
.LBB22_1898:
	s_andn2_saveexec_b32 s5, s5
; %bb.1899:
	v_mov_b32_e32 v6, 0x7f
	v_cmp_lt_u32_e32 vcc_lo, 0x7f800000, v10
	v_cndmask_b32_e32 v6, 0x7c, v6, vcc_lo
; %bb.1900:
	s_or_b32 exec_lo, exec_lo, s5
	v_lshrrev_b32_e32 v10, 24, v5
	v_and_or_b32 v6, 0x80, v10, v6
	global_store_byte v[8:9], v6, off
.LBB22_1901:
	s_mov_b32 s5, 0
	s_mov_b32 s6, -1
.LBB22_1902:
	s_andn2_b32 vcc_lo, exec_lo, s5
	s_mov_b32 s5, 0
	s_cbranch_vccnz .LBB22_1909
; %bb.1903:
	s_cmp_gt_i32 s2, 14
	s_mov_b32 s5, -1
	s_cbranch_scc0 .LBB22_1907
; %bb.1904:
	s_cmp_eq_u32 s2, 15
	s_mov_b32 s0, -1
	s_cbranch_scc0 .LBB22_1906
; %bb.1905:
	v_bfe_u32 v6, v5, 16, 1
	v_cmp_o_f32_e32 vcc_lo, v5, v5
	v_mov_b32_e32 v10, 0x7fc0
	s_mov_b32 s0, 0
	s_mov_b32 s6, -1
	v_add3_u32 v6, v5, v6, 0x7fff
	v_cndmask_b32_sdwa v6, v10, v6, vcc_lo dst_sel:DWORD dst_unused:UNUSED_PAD src0_sel:DWORD src1_sel:WORD_1
	global_store_short v[8:9], v6, off
.LBB22_1906:
	s_mov_b32 s5, 0
.LBB22_1907:
	s_and_b32 vcc_lo, exec_lo, s5
	s_mov_b32 s5, 0
	s_cbranch_vccz .LBB22_1909
; %bb.1908:
	s_cmp_lg_u32 s2, 11
	s_mov_b32 s5, -1
	s_cselect_b32 s0, -1, 0
.LBB22_1909:
	s_and_b32 vcc_lo, exec_lo, s0
	s_cbranch_vccnz .LBB22_2273
; %bb.1910:
	s_andn2_b32 vcc_lo, exec_lo, s5
	s_cbranch_vccnz .LBB22_1912
.LBB22_1911:
	v_cmp_neq_f32_e32 vcc_lo, 0, v5
	s_mov_b32 s6, -1
	v_cndmask_b32_e64 v6, 0, 1, vcc_lo
	global_store_byte v[8:9], v6, off
.LBB22_1912:
	s_mov_b32 s0, 0
	s_branch .LBB22_1914
.LBB22_1913:
	s_mov_b32 s0, -1
	s_mov_b32 s6, 0
.LBB22_1914:
	s_and_b32 vcc_lo, exec_lo, s0
	s_cbranch_vccz .LBB22_1953
; %bb.1915:
	s_and_b32 s0, 0xffff, s1
	s_mov_b32 s1, -1
	s_cmp_lt_i32 s0, 5
	s_cbranch_scc1 .LBB22_1936
; %bb.1916:
	s_cmp_lt_i32 s0, 8
	s_cbranch_scc1 .LBB22_1926
; %bb.1917:
	;; [unrolled: 3-line block ×3, first 2 shown]
	s_cmp_gt_i32 s0, 9
	s_cbranch_scc0 .LBB22_1920
; %bb.1919:
	v_cvt_f64_f32_e32 v[10:11], v5
	v_mov_b32_e32 v12, 0
	s_mov_b32 s1, 0
	v_mov_b32_e32 v13, v12
	global_store_dwordx4 v[8:9], v[10:13], off
.LBB22_1920:
	s_andn2_b32 vcc_lo, exec_lo, s1
	s_cbranch_vccnz .LBB22_1922
; %bb.1921:
	v_mov_b32_e32 v6, 0
	global_store_dwordx2 v[8:9], v[5:6], off
.LBB22_1922:
	s_mov_b32 s1, 0
.LBB22_1923:
	s_andn2_b32 vcc_lo, exec_lo, s1
	s_cbranch_vccnz .LBB22_1925
; %bb.1924:
	v_cvt_f16_f32_e32 v6, v5
	v_and_b32_e32 v6, 0xffff, v6
	global_store_dword v[8:9], v6, off
.LBB22_1925:
	s_mov_b32 s1, 0
.LBB22_1926:
	s_andn2_b32 vcc_lo, exec_lo, s1
	s_cbranch_vccnz .LBB22_1935
; %bb.1927:
	s_cmp_lt_i32 s0, 6
	s_mov_b32 s1, -1
	s_cbranch_scc1 .LBB22_1933
; %bb.1928:
	s_cmp_gt_i32 s0, 6
	s_cbranch_scc0 .LBB22_1930
; %bb.1929:
	v_cvt_f64_f32_e32 v[10:11], v5
	s_mov_b32 s1, 0
	global_store_dwordx2 v[8:9], v[10:11], off
.LBB22_1930:
	s_andn2_b32 vcc_lo, exec_lo, s1
	s_cbranch_vccnz .LBB22_1932
; %bb.1931:
	global_store_dword v[8:9], v5, off
.LBB22_1932:
	s_mov_b32 s1, 0
.LBB22_1933:
	s_andn2_b32 vcc_lo, exec_lo, s1
	s_cbranch_vccnz .LBB22_1935
; %bb.1934:
	v_cvt_f16_f32_e32 v6, v5
	global_store_short v[8:9], v6, off
.LBB22_1935:
	s_mov_b32 s1, 0
.LBB22_1936:
	s_andn2_b32 vcc_lo, exec_lo, s1
	s_cbranch_vccnz .LBB22_1952
; %bb.1937:
	s_cmp_lt_i32 s0, 2
	s_mov_b32 s1, -1
	s_cbranch_scc1 .LBB22_1947
; %bb.1938:
	s_cmp_lt_i32 s0, 3
	s_cbranch_scc1 .LBB22_1944
; %bb.1939:
	s_cmp_gt_i32 s0, 3
	s_cbranch_scc0 .LBB22_1941
; %bb.1940:
	v_trunc_f32_e32 v6, v5
	s_mov_b32 s1, 0
	v_mul_f32_e64 v10, 0x2f800000, |v6|
	v_floor_f32_e32 v10, v10
	v_fma_f32 v11, 0xcf800000, v10, |v6|
	v_ashrrev_i32_e32 v6, 31, v6
	v_cvt_u32_f32_e32 v10, v10
	v_cvt_u32_f32_e32 v11, v11
	v_xor_b32_e32 v12, v10, v6
	v_xor_b32_e32 v11, v11, v6
	v_sub_co_u32 v10, vcc_lo, v11, v6
	v_sub_co_ci_u32_e64 v11, null, v12, v6, vcc_lo
	global_store_dwordx2 v[8:9], v[10:11], off
.LBB22_1941:
	s_andn2_b32 vcc_lo, exec_lo, s1
	s_cbranch_vccnz .LBB22_1943
; %bb.1942:
	v_cvt_i32_f32_e32 v6, v5
	global_store_dword v[8:9], v6, off
.LBB22_1943:
	s_mov_b32 s1, 0
.LBB22_1944:
	s_andn2_b32 vcc_lo, exec_lo, s1
	s_cbranch_vccnz .LBB22_1946
; %bb.1945:
	v_cvt_i32_f32_e32 v6, v5
	global_store_short v[8:9], v6, off
.LBB22_1946:
	s_mov_b32 s1, 0
.LBB22_1947:
	s_andn2_b32 vcc_lo, exec_lo, s1
	s_cbranch_vccnz .LBB22_1952
; %bb.1948:
	s_cmp_gt_i32 s0, 0
	s_mov_b32 s0, -1
	s_cbranch_scc0 .LBB22_1950
; %bb.1949:
	v_cvt_i32_f32_e32 v6, v5
	s_mov_b32 s0, 0
	global_store_byte v[8:9], v6, off
.LBB22_1950:
	s_andn2_b32 vcc_lo, exec_lo, s0
	s_cbranch_vccnz .LBB22_1952
; %bb.1951:
	v_trunc_f32_e32 v5, v5
	v_mul_f32_e64 v6, 0x2f800000, |v5|
	v_floor_f32_e32 v6, v6
	v_fma_f32 v6, 0xcf800000, v6, |v5|
	v_ashrrev_i32_e32 v5, 31, v5
	v_cvt_u32_f32_e32 v6, v6
	v_xor_b32_e32 v6, v6, v5
	v_sub_nc_u32_e32 v5, v6, v5
	global_store_byte v[8:9], v5, off
.LBB22_1952:
	s_mov_b32 s6, -1
.LBB22_1953:
	s_andn2_b32 vcc_lo, exec_lo, s6
	s_cbranch_vccnz .LBB22_2268
; %bb.1954:
	s_lshr_b32 s0, s4, 8
	s_and_b32 s1, s0, 0xff
	v_add_co_u32 v5, s0, s8, v4
	v_add_co_ci_u32_e64 v6, null, s9, 0, s0
	s_cmp_lt_i32 s1, 11
	s_cbranch_scc1 .LBB22_2032
; %bb.1955:
	s_and_b32 s2, 0xffff, s1
	s_mov_b32 s6, -1
	s_mov_b32 s4, 0
	s_cmp_gt_i32 s2, 25
	s_mov_b32 s5, 0
	s_mov_b32 s0, 0
	s_cbranch_scc0 .LBB22_1988
; %bb.1956:
	s_cmp_gt_i32 s2, 28
	s_cbranch_scc0 .LBB22_1971
; %bb.1957:
	s_cmp_gt_i32 s2, 43
	;; [unrolled: 3-line block ×3, first 2 shown]
	s_cbranch_scc0 .LBB22_1961
; %bb.1959:
	s_mov_b32 s0, -1
	s_mov_b32 s6, 0
	s_cmp_eq_u32 s2, 46
	s_cbranch_scc0 .LBB22_1961
; %bb.1960:
	v_bfe_u32 v4, v3, 16, 1
	v_cmp_o_f32_e32 vcc_lo, v3, v3
	v_mov_b32_e32 v8, 0x7fc0
	s_mov_b32 s0, 0
	s_mov_b32 s5, -1
	v_add3_u32 v4, v3, v4, 0x7fff
	v_cndmask_b32_sdwa v4, v8, v4, vcc_lo dst_sel:DWORD dst_unused:UNUSED_PAD src0_sel:DWORD src1_sel:WORD_1
	global_store_dword v[5:6], v4, off
.LBB22_1961:
	s_and_b32 vcc_lo, exec_lo, s6
	s_cbranch_vccz .LBB22_1966
; %bb.1962:
	s_cmp_eq_u32 s2, 44
	s_mov_b32 s0, -1
	s_cbranch_scc0 .LBB22_1966
; %bb.1963:
	v_bfe_u32 v8, v3, 23, 8
	v_mov_b32_e32 v4, 0xff
	s_mov_b32 s5, exec_lo
	v_cmpx_ne_u32_e32 0xff, v8
	s_cbranch_execz .LBB22_1965
; %bb.1964:
	v_and_b32_e32 v4, 0x400000, v3
	v_and_or_b32 v8, 0x3fffff, v3, v8
	v_cmp_ne_u32_e32 vcc_lo, 0, v4
	v_cmp_ne_u32_e64 s0, 0, v8
	v_lshrrev_b32_e32 v4, 23, v3
	s_and_b32 s0, vcc_lo, s0
	v_cndmask_b32_e64 v8, 0, 1, s0
	v_add_nc_u32_e32 v4, v4, v8
.LBB22_1965:
	s_or_b32 exec_lo, exec_lo, s5
	s_mov_b32 s0, 0
	s_mov_b32 s5, -1
	global_store_byte v[5:6], v4, off
.LBB22_1966:
	s_mov_b32 s6, 0
.LBB22_1967:
	s_and_b32 vcc_lo, exec_lo, s6
	s_cbranch_vccz .LBB22_1970
; %bb.1968:
	s_cmp_eq_u32 s2, 29
	s_mov_b32 s0, -1
	s_cbranch_scc0 .LBB22_1970
; %bb.1969:
	v_trunc_f32_e32 v4, v3
	s_mov_b32 s0, 0
	s_mov_b32 s5, -1
	v_mul_f32_e32 v8, 0x2f800000, v4
	v_floor_f32_e32 v8, v8
	v_fmamk_f32 v4, v8, 0xcf800000, v4
	v_cvt_u32_f32_e32 v9, v8
	v_cvt_u32_f32_e32 v8, v4
	global_store_dwordx2 v[5:6], v[8:9], off
.LBB22_1970:
	s_mov_b32 s6, 0
.LBB22_1971:
	s_and_b32 vcc_lo, exec_lo, s6
	s_cbranch_vccz .LBB22_1987
; %bb.1972:
	s_cmp_lt_i32 s2, 27
	s_mov_b32 s5, -1
	s_cbranch_scc1 .LBB22_1978
; %bb.1973:
	s_cmp_gt_i32 s2, 27
	s_cbranch_scc0 .LBB22_1975
; %bb.1974:
	v_cvt_u32_f32_e32 v4, v3
	s_mov_b32 s5, 0
	global_store_dword v[5:6], v4, off
.LBB22_1975:
	s_andn2_b32 vcc_lo, exec_lo, s5
	s_cbranch_vccnz .LBB22_1977
; %bb.1976:
	v_cvt_u32_f32_e32 v4, v3
	global_store_short v[5:6], v4, off
.LBB22_1977:
	s_mov_b32 s5, 0
.LBB22_1978:
	s_andn2_b32 vcc_lo, exec_lo, s5
	s_cbranch_vccnz .LBB22_1986
; %bb.1979:
	v_and_b32_e32 v4, 0x7fffffff, v3
	v_mov_b32_e32 v8, 0x80
	s_mov_b32 s5, exec_lo
	v_cmpx_gt_u32_e32 0x43800000, v4
	s_cbranch_execz .LBB22_1985
; %bb.1980:
	v_cmp_lt_u32_e32 vcc_lo, 0x3bffffff, v4
	s_mov_b32 s6, 0
                                        ; implicit-def: $vgpr4
	s_and_saveexec_b32 s7, vcc_lo
	s_xor_b32 s7, exec_lo, s7
	s_cbranch_execz .LBB22_2276
; %bb.1981:
	v_bfe_u32 v4, v3, 20, 1
	s_mov_b32 s6, exec_lo
	v_add3_u32 v4, v3, v4, 0x487ffff
	v_lshrrev_b32_e32 v4, 20, v4
	s_andn2_saveexec_b32 s7, s7
	s_cbranch_execnz .LBB22_2277
.LBB22_1982:
	s_or_b32 exec_lo, exec_lo, s7
	v_mov_b32_e32 v8, 0
	s_and_saveexec_b32 s7, s6
.LBB22_1983:
	v_lshrrev_b32_e32 v8, 24, v3
	v_and_or_b32 v8, 0x80, v8, v4
.LBB22_1984:
	s_or_b32 exec_lo, exec_lo, s7
.LBB22_1985:
	s_or_b32 exec_lo, exec_lo, s5
	global_store_byte v[5:6], v8, off
.LBB22_1986:
	s_mov_b32 s5, -1
.LBB22_1987:
	s_mov_b32 s6, 0
.LBB22_1988:
	s_and_b32 vcc_lo, exec_lo, s6
	s_cbranch_vccz .LBB22_2028
; %bb.1989:
	s_cmp_gt_i32 s2, 22
	s_mov_b32 s4, -1
	s_cbranch_scc0 .LBB22_2021
; %bb.1990:
	s_cmp_lt_i32 s2, 24
	s_cbranch_scc1 .LBB22_2010
; %bb.1991:
	s_cmp_gt_i32 s2, 24
	s_cbranch_scc0 .LBB22_1999
; %bb.1992:
	v_and_b32_e32 v4, 0x7fffffff, v3
	v_mov_b32_e32 v8, 0x80
	s_mov_b32 s4, exec_lo
	v_cmpx_gt_u32_e32 0x47800000, v4
	s_cbranch_execz .LBB22_1998
; %bb.1993:
	v_cmp_lt_u32_e32 vcc_lo, 0x37ffffff, v4
	s_mov_b32 s5, 0
                                        ; implicit-def: $vgpr4
	s_and_saveexec_b32 s6, vcc_lo
	s_xor_b32 s6, exec_lo, s6
	s_cbranch_execz .LBB22_2279
; %bb.1994:
	v_bfe_u32 v4, v3, 21, 1
	s_mov_b32 s5, exec_lo
	v_add3_u32 v4, v3, v4, 0x88fffff
	v_lshrrev_b32_e32 v4, 21, v4
	s_andn2_saveexec_b32 s6, s6
	s_cbranch_execnz .LBB22_2280
.LBB22_1995:
	s_or_b32 exec_lo, exec_lo, s6
	v_mov_b32_e32 v8, 0
	s_and_saveexec_b32 s6, s5
.LBB22_1996:
	v_lshrrev_b32_e32 v8, 24, v3
	v_and_or_b32 v8, 0x80, v8, v4
.LBB22_1997:
	s_or_b32 exec_lo, exec_lo, s6
.LBB22_1998:
	s_or_b32 exec_lo, exec_lo, s4
	s_mov_b32 s4, 0
	global_store_byte v[5:6], v8, off
.LBB22_1999:
	s_and_b32 vcc_lo, exec_lo, s4
	s_cbranch_vccz .LBB22_2009
; %bb.2000:
	v_and_b32_e32 v8, 0x7fffffff, v3
	s_mov_b32 s4, exec_lo
                                        ; implicit-def: $vgpr4
	v_cmpx_gt_u32_e32 0x43f00000, v8
	s_xor_b32 s4, exec_lo, s4
	s_cbranch_execz .LBB22_2006
; %bb.2001:
	s_mov_b32 s5, exec_lo
                                        ; implicit-def: $vgpr4
	v_cmpx_lt_u32_e32 0x3c7fffff, v8
	s_xor_b32 s5, exec_lo, s5
; %bb.2002:
	v_bfe_u32 v4, v3, 20, 1
	v_add3_u32 v4, v3, v4, 0x407ffff
	v_and_b32_e32 v8, 0xff00000, v4
	v_lshrrev_b32_e32 v4, 20, v4
	v_cmp_ne_u32_e32 vcc_lo, 0x7f00000, v8
	v_cndmask_b32_e32 v4, 0x7e, v4, vcc_lo
; %bb.2003:
	s_andn2_saveexec_b32 s5, s5
; %bb.2004:
	v_add_f32_e64 v4, 0x46800000, |v3|
; %bb.2005:
	s_or_b32 exec_lo, exec_lo, s5
                                        ; implicit-def: $vgpr8
.LBB22_2006:
	s_andn2_saveexec_b32 s4, s4
; %bb.2007:
	v_mov_b32_e32 v4, 0x7f
	v_cmp_lt_u32_e32 vcc_lo, 0x7f800000, v8
	v_cndmask_b32_e32 v4, 0x7e, v4, vcc_lo
; %bb.2008:
	s_or_b32 exec_lo, exec_lo, s4
	v_lshrrev_b32_e32 v8, 24, v3
	v_and_or_b32 v4, 0x80, v8, v4
	global_store_byte v[5:6], v4, off
.LBB22_2009:
	s_mov_b32 s4, 0
.LBB22_2010:
	s_andn2_b32 vcc_lo, exec_lo, s4
	s_cbranch_vccnz .LBB22_2020
; %bb.2011:
	v_and_b32_e32 v8, 0x7fffffff, v3
	s_mov_b32 s4, exec_lo
                                        ; implicit-def: $vgpr4
	v_cmpx_gt_u32_e32 0x47800000, v8
	s_xor_b32 s4, exec_lo, s4
	s_cbranch_execz .LBB22_2017
; %bb.2012:
	s_mov_b32 s5, exec_lo
                                        ; implicit-def: $vgpr4
	v_cmpx_lt_u32_e32 0x387fffff, v8
	s_xor_b32 s5, exec_lo, s5
; %bb.2013:
	v_bfe_u32 v4, v3, 21, 1
	v_add3_u32 v4, v3, v4, 0x80fffff
	v_lshrrev_b32_e32 v4, 21, v4
; %bb.2014:
	s_andn2_saveexec_b32 s5, s5
; %bb.2015:
	v_add_f32_e64 v4, 0x43000000, |v3|
; %bb.2016:
	s_or_b32 exec_lo, exec_lo, s5
                                        ; implicit-def: $vgpr8
.LBB22_2017:
	s_andn2_saveexec_b32 s4, s4
; %bb.2018:
	v_mov_b32_e32 v4, 0x7f
	v_cmp_lt_u32_e32 vcc_lo, 0x7f800000, v8
	v_cndmask_b32_e32 v4, 0x7c, v4, vcc_lo
; %bb.2019:
	s_or_b32 exec_lo, exec_lo, s4
	v_lshrrev_b32_e32 v8, 24, v3
	v_and_or_b32 v4, 0x80, v8, v4
	global_store_byte v[5:6], v4, off
.LBB22_2020:
	s_mov_b32 s4, 0
	s_mov_b32 s5, -1
.LBB22_2021:
	s_andn2_b32 vcc_lo, exec_lo, s4
	s_mov_b32 s4, 0
	s_cbranch_vccnz .LBB22_2028
; %bb.2022:
	s_cmp_gt_i32 s2, 14
	s_mov_b32 s4, -1
	s_cbranch_scc0 .LBB22_2026
; %bb.2023:
	s_cmp_eq_u32 s2, 15
	s_mov_b32 s0, -1
	s_cbranch_scc0 .LBB22_2025
; %bb.2024:
	v_bfe_u32 v4, v3, 16, 1
	v_cmp_o_f32_e32 vcc_lo, v3, v3
	v_mov_b32_e32 v8, 0x7fc0
	s_mov_b32 s0, 0
	s_mov_b32 s5, -1
	v_add3_u32 v4, v3, v4, 0x7fff
	v_cndmask_b32_sdwa v4, v8, v4, vcc_lo dst_sel:DWORD dst_unused:UNUSED_PAD src0_sel:DWORD src1_sel:WORD_1
	global_store_short v[5:6], v4, off
.LBB22_2025:
	s_mov_b32 s4, 0
.LBB22_2026:
	s_and_b32 vcc_lo, exec_lo, s4
	s_mov_b32 s4, 0
	s_cbranch_vccz .LBB22_2028
; %bb.2027:
	s_cmp_lg_u32 s2, 11
	s_mov_b32 s4, -1
	s_cselect_b32 s0, -1, 0
.LBB22_2028:
	s_and_b32 vcc_lo, exec_lo, s0
	s_cbranch_vccnz .LBB22_2278
; %bb.2029:
	s_andn2_b32 vcc_lo, exec_lo, s4
	s_cbranch_vccnz .LBB22_2031
.LBB22_2030:
	v_cmp_neq_f32_e32 vcc_lo, 0, v3
	s_mov_b32 s5, -1
	v_cndmask_b32_e64 v4, 0, 1, vcc_lo
	global_store_byte v[5:6], v4, off
.LBB22_2031:
	s_mov_b32 s0, 0
	s_branch .LBB22_2033
.LBB22_2032:
	s_mov_b32 s0, -1
	s_mov_b32 s5, 0
.LBB22_2033:
	s_and_b32 vcc_lo, exec_lo, s0
	s_cbranch_vccz .LBB22_2072
; %bb.2034:
	s_and_b32 s0, 0xffff, s1
	s_mov_b32 s2, -1
	s_cmp_lt_i32 s0, 5
	s_cbranch_scc1 .LBB22_2055
; %bb.2035:
	s_cmp_lt_i32 s0, 8
	s_cbranch_scc1 .LBB22_2045
; %bb.2036:
	;; [unrolled: 3-line block ×3, first 2 shown]
	s_cmp_gt_i32 s0, 9
	s_cbranch_scc0 .LBB22_2039
; %bb.2038:
	v_cvt_f64_f32_e32 v[8:9], v3
	v_mov_b32_e32 v10, 0
	s_mov_b32 s2, 0
	v_mov_b32_e32 v11, v10
	global_store_dwordx4 v[5:6], v[8:11], off
.LBB22_2039:
	s_andn2_b32 vcc_lo, exec_lo, s2
	s_cbranch_vccnz .LBB22_2041
; %bb.2040:
	v_mov_b32_e32 v4, 0
	global_store_dwordx2 v[5:6], v[3:4], off
.LBB22_2041:
	s_mov_b32 s2, 0
.LBB22_2042:
	s_andn2_b32 vcc_lo, exec_lo, s2
	s_cbranch_vccnz .LBB22_2044
; %bb.2043:
	v_cvt_f16_f32_e32 v4, v3
	v_and_b32_e32 v4, 0xffff, v4
	global_store_dword v[5:6], v4, off
.LBB22_2044:
	s_mov_b32 s2, 0
.LBB22_2045:
	s_andn2_b32 vcc_lo, exec_lo, s2
	s_cbranch_vccnz .LBB22_2054
; %bb.2046:
	s_cmp_lt_i32 s0, 6
	s_mov_b32 s2, -1
	s_cbranch_scc1 .LBB22_2052
; %bb.2047:
	s_cmp_gt_i32 s0, 6
	s_cbranch_scc0 .LBB22_2049
; %bb.2048:
	v_cvt_f64_f32_e32 v[8:9], v3
	s_mov_b32 s2, 0
	global_store_dwordx2 v[5:6], v[8:9], off
.LBB22_2049:
	s_andn2_b32 vcc_lo, exec_lo, s2
	s_cbranch_vccnz .LBB22_2051
; %bb.2050:
	global_store_dword v[5:6], v3, off
.LBB22_2051:
	s_mov_b32 s2, 0
.LBB22_2052:
	s_andn2_b32 vcc_lo, exec_lo, s2
	s_cbranch_vccnz .LBB22_2054
; %bb.2053:
	v_cvt_f16_f32_e32 v4, v3
	global_store_short v[5:6], v4, off
.LBB22_2054:
	s_mov_b32 s2, 0
.LBB22_2055:
	s_andn2_b32 vcc_lo, exec_lo, s2
	s_cbranch_vccnz .LBB22_2071
; %bb.2056:
	s_cmp_lt_i32 s0, 2
	s_mov_b32 s2, -1
	s_cbranch_scc1 .LBB22_2066
; %bb.2057:
	s_cmp_lt_i32 s0, 3
	s_cbranch_scc1 .LBB22_2063
; %bb.2058:
	s_cmp_gt_i32 s0, 3
	s_cbranch_scc0 .LBB22_2060
; %bb.2059:
	v_trunc_f32_e32 v4, v3
	s_mov_b32 s2, 0
	v_mul_f32_e64 v8, 0x2f800000, |v4|
	v_floor_f32_e32 v8, v8
	v_fma_f32 v9, 0xcf800000, v8, |v4|
	v_ashrrev_i32_e32 v4, 31, v4
	v_cvt_u32_f32_e32 v8, v8
	v_cvt_u32_f32_e32 v9, v9
	v_xor_b32_e32 v10, v8, v4
	v_xor_b32_e32 v9, v9, v4
	v_sub_co_u32 v8, vcc_lo, v9, v4
	v_sub_co_ci_u32_e64 v9, null, v10, v4, vcc_lo
	global_store_dwordx2 v[5:6], v[8:9], off
.LBB22_2060:
	s_andn2_b32 vcc_lo, exec_lo, s2
	s_cbranch_vccnz .LBB22_2062
; %bb.2061:
	v_cvt_i32_f32_e32 v4, v3
	global_store_dword v[5:6], v4, off
.LBB22_2062:
	s_mov_b32 s2, 0
.LBB22_2063:
	s_andn2_b32 vcc_lo, exec_lo, s2
	s_cbranch_vccnz .LBB22_2065
; %bb.2064:
	v_cvt_i32_f32_e32 v4, v3
	global_store_short v[5:6], v4, off
.LBB22_2065:
	s_mov_b32 s2, 0
.LBB22_2066:
	s_andn2_b32 vcc_lo, exec_lo, s2
	s_cbranch_vccnz .LBB22_2071
; %bb.2067:
	s_cmp_gt_i32 s0, 0
	s_mov_b32 s0, -1
	s_cbranch_scc0 .LBB22_2069
; %bb.2068:
	v_cvt_i32_f32_e32 v4, v3
	s_mov_b32 s0, 0
	global_store_byte v[5:6], v4, off
.LBB22_2069:
	s_andn2_b32 vcc_lo, exec_lo, s0
	s_cbranch_vccnz .LBB22_2071
; %bb.2070:
	v_trunc_f32_e32 v3, v3
	v_mul_f32_e64 v4, 0x2f800000, |v3|
	v_floor_f32_e32 v4, v4
	v_fma_f32 v4, 0xcf800000, v4, |v3|
	v_ashrrev_i32_e32 v3, 31, v3
	v_cvt_u32_f32_e32 v4, v4
	v_xor_b32_e32 v4, v4, v3
	v_sub_nc_u32_e32 v3, v4, v3
	global_store_byte v[5:6], v3, off
.LBB22_2071:
	s_mov_b32 s5, -1
.LBB22_2072:
	s_andn2_b32 vcc_lo, exec_lo, s5
	s_cbranch_vccnz .LBB22_2268
; %bb.2073:
	v_add_co_u32 v3, s0, s8, v2
	v_add_co_ci_u32_e64 v4, null, s9, 0, s0
	s_cmp_lt_i32 s1, 11
	s_cbranch_scc1 .LBB22_2151
; %bb.2074:
	s_and_b32 s2, 0xffff, s1
	s_mov_b32 s6, -1
	s_mov_b32 s4, 0
	s_cmp_gt_i32 s2, 25
	s_mov_b32 s5, 0
	s_mov_b32 s0, 0
	s_cbranch_scc0 .LBB22_2107
; %bb.2075:
	s_cmp_gt_i32 s2, 28
	s_cbranch_scc0 .LBB22_2090
; %bb.2076:
	s_cmp_gt_i32 s2, 43
	;; [unrolled: 3-line block ×3, first 2 shown]
	s_cbranch_scc0 .LBB22_2080
; %bb.2078:
	s_mov_b32 s0, -1
	s_mov_b32 s6, 0
	s_cmp_eq_u32 s2, 46
	s_cbranch_scc0 .LBB22_2080
; %bb.2079:
	v_bfe_u32 v2, v1, 16, 1
	v_cmp_o_f32_e32 vcc_lo, v1, v1
	v_mov_b32_e32 v5, 0x7fc0
	s_mov_b32 s0, 0
	s_mov_b32 s5, -1
	v_add3_u32 v2, v1, v2, 0x7fff
	v_cndmask_b32_sdwa v2, v5, v2, vcc_lo dst_sel:DWORD dst_unused:UNUSED_PAD src0_sel:DWORD src1_sel:WORD_1
	global_store_dword v[3:4], v2, off
.LBB22_2080:
	s_and_b32 vcc_lo, exec_lo, s6
	s_cbranch_vccz .LBB22_2085
; %bb.2081:
	s_cmp_eq_u32 s2, 44
	s_mov_b32 s0, -1
	s_cbranch_scc0 .LBB22_2085
; %bb.2082:
	v_bfe_u32 v5, v1, 23, 8
	v_mov_b32_e32 v2, 0xff
	s_mov_b32 s5, exec_lo
	v_cmpx_ne_u32_e32 0xff, v5
	s_cbranch_execz .LBB22_2084
; %bb.2083:
	v_and_b32_e32 v2, 0x400000, v1
	v_and_or_b32 v5, 0x3fffff, v1, v5
	v_cmp_ne_u32_e32 vcc_lo, 0, v2
	v_cmp_ne_u32_e64 s0, 0, v5
	v_lshrrev_b32_e32 v2, 23, v1
	s_and_b32 s0, vcc_lo, s0
	v_cndmask_b32_e64 v5, 0, 1, s0
	v_add_nc_u32_e32 v2, v2, v5
.LBB22_2084:
	s_or_b32 exec_lo, exec_lo, s5
	s_mov_b32 s0, 0
	s_mov_b32 s5, -1
	global_store_byte v[3:4], v2, off
.LBB22_2085:
	s_mov_b32 s6, 0
.LBB22_2086:
	s_and_b32 vcc_lo, exec_lo, s6
	s_cbranch_vccz .LBB22_2089
; %bb.2087:
	s_cmp_eq_u32 s2, 29
	s_mov_b32 s0, -1
	s_cbranch_scc0 .LBB22_2089
; %bb.2088:
	v_trunc_f32_e32 v2, v1
	s_mov_b32 s0, 0
	s_mov_b32 s5, -1
	v_mul_f32_e32 v5, 0x2f800000, v2
	v_floor_f32_e32 v5, v5
	v_fmamk_f32 v2, v5, 0xcf800000, v2
	v_cvt_u32_f32_e32 v6, v5
	v_cvt_u32_f32_e32 v5, v2
	global_store_dwordx2 v[3:4], v[5:6], off
.LBB22_2089:
	s_mov_b32 s6, 0
.LBB22_2090:
	s_and_b32 vcc_lo, exec_lo, s6
	s_cbranch_vccz .LBB22_2106
; %bb.2091:
	s_cmp_lt_i32 s2, 27
	s_mov_b32 s5, -1
	s_cbranch_scc1 .LBB22_2097
; %bb.2092:
	v_cvt_u32_f32_e32 v2, v1
	s_cmp_gt_i32 s2, 27
	s_cbranch_scc0 .LBB22_2094
; %bb.2093:
	s_mov_b32 s5, 0
	global_store_dword v[3:4], v2, off
.LBB22_2094:
	s_andn2_b32 vcc_lo, exec_lo, s5
	s_cbranch_vccnz .LBB22_2096
; %bb.2095:
	global_store_short v[3:4], v2, off
.LBB22_2096:
	s_mov_b32 s5, 0
.LBB22_2097:
	s_andn2_b32 vcc_lo, exec_lo, s5
	s_cbranch_vccnz .LBB22_2105
; %bb.2098:
	v_and_b32_e32 v2, 0x7fffffff, v1
	v_mov_b32_e32 v5, 0x80
	s_mov_b32 s5, exec_lo
	v_cmpx_gt_u32_e32 0x43800000, v2
	s_cbranch_execz .LBB22_2104
; %bb.2099:
	v_cmp_lt_u32_e32 vcc_lo, 0x3bffffff, v2
	s_mov_b32 s6, 0
                                        ; implicit-def: $vgpr2
	s_and_saveexec_b32 s7, vcc_lo
	s_xor_b32 s7, exec_lo, s7
	s_cbranch_execz .LBB22_2281
; %bb.2100:
	v_bfe_u32 v2, v1, 20, 1
	s_mov_b32 s6, exec_lo
	v_add3_u32 v2, v1, v2, 0x487ffff
	v_lshrrev_b32_e32 v2, 20, v2
	s_andn2_saveexec_b32 s7, s7
	s_cbranch_execnz .LBB22_2282
.LBB22_2101:
	s_or_b32 exec_lo, exec_lo, s7
	v_mov_b32_e32 v5, 0
	s_and_saveexec_b32 s7, s6
.LBB22_2102:
	v_lshrrev_b32_e32 v5, 24, v1
	v_and_or_b32 v5, 0x80, v5, v2
.LBB22_2103:
	s_or_b32 exec_lo, exec_lo, s7
.LBB22_2104:
	s_or_b32 exec_lo, exec_lo, s5
	global_store_byte v[3:4], v5, off
.LBB22_2105:
	s_mov_b32 s5, -1
.LBB22_2106:
	s_mov_b32 s6, 0
.LBB22_2107:
	s_and_b32 vcc_lo, exec_lo, s6
	s_cbranch_vccz .LBB22_2147
; %bb.2108:
	s_cmp_gt_i32 s2, 22
	s_mov_b32 s4, -1
	s_cbranch_scc0 .LBB22_2140
; %bb.2109:
	s_cmp_lt_i32 s2, 24
	s_cbranch_scc1 .LBB22_2129
; %bb.2110:
	s_cmp_gt_i32 s2, 24
	s_cbranch_scc0 .LBB22_2118
; %bb.2111:
	v_and_b32_e32 v2, 0x7fffffff, v1
	v_mov_b32_e32 v5, 0x80
	s_mov_b32 s4, exec_lo
	v_cmpx_gt_u32_e32 0x47800000, v2
	s_cbranch_execz .LBB22_2117
; %bb.2112:
	v_cmp_lt_u32_e32 vcc_lo, 0x37ffffff, v2
	s_mov_b32 s5, 0
                                        ; implicit-def: $vgpr2
	s_and_saveexec_b32 s6, vcc_lo
	s_xor_b32 s6, exec_lo, s6
	s_cbranch_execz .LBB22_2284
; %bb.2113:
	v_bfe_u32 v2, v1, 21, 1
	s_mov_b32 s5, exec_lo
	v_add3_u32 v2, v1, v2, 0x88fffff
	v_lshrrev_b32_e32 v2, 21, v2
	s_andn2_saveexec_b32 s6, s6
	s_cbranch_execnz .LBB22_2285
.LBB22_2114:
	s_or_b32 exec_lo, exec_lo, s6
	v_mov_b32_e32 v5, 0
	s_and_saveexec_b32 s6, s5
.LBB22_2115:
	v_lshrrev_b32_e32 v5, 24, v1
	v_and_or_b32 v5, 0x80, v5, v2
.LBB22_2116:
	s_or_b32 exec_lo, exec_lo, s6
.LBB22_2117:
	s_or_b32 exec_lo, exec_lo, s4
	s_mov_b32 s4, 0
	global_store_byte v[3:4], v5, off
.LBB22_2118:
	s_and_b32 vcc_lo, exec_lo, s4
	s_cbranch_vccz .LBB22_2128
; %bb.2119:
	v_and_b32_e32 v5, 0x7fffffff, v1
	s_mov_b32 s4, exec_lo
                                        ; implicit-def: $vgpr2
	v_cmpx_gt_u32_e32 0x43f00000, v5
	s_xor_b32 s4, exec_lo, s4
	s_cbranch_execz .LBB22_2125
; %bb.2120:
	s_mov_b32 s5, exec_lo
                                        ; implicit-def: $vgpr2
	v_cmpx_lt_u32_e32 0x3c7fffff, v5
	s_xor_b32 s5, exec_lo, s5
; %bb.2121:
	v_bfe_u32 v2, v1, 20, 1
	v_add3_u32 v2, v1, v2, 0x407ffff
	v_and_b32_e32 v5, 0xff00000, v2
	v_lshrrev_b32_e32 v2, 20, v2
	v_cmp_ne_u32_e32 vcc_lo, 0x7f00000, v5
	v_cndmask_b32_e32 v2, 0x7e, v2, vcc_lo
; %bb.2122:
	s_andn2_saveexec_b32 s5, s5
; %bb.2123:
	v_add_f32_e64 v2, 0x46800000, |v1|
; %bb.2124:
	s_or_b32 exec_lo, exec_lo, s5
                                        ; implicit-def: $vgpr5
.LBB22_2125:
	s_andn2_saveexec_b32 s4, s4
; %bb.2126:
	v_mov_b32_e32 v2, 0x7f
	v_cmp_lt_u32_e32 vcc_lo, 0x7f800000, v5
	v_cndmask_b32_e32 v2, 0x7e, v2, vcc_lo
; %bb.2127:
	s_or_b32 exec_lo, exec_lo, s4
	v_lshrrev_b32_e32 v5, 24, v1
	v_and_or_b32 v2, 0x80, v5, v2
	global_store_byte v[3:4], v2, off
.LBB22_2128:
	s_mov_b32 s4, 0
.LBB22_2129:
	s_andn2_b32 vcc_lo, exec_lo, s4
	s_cbranch_vccnz .LBB22_2139
; %bb.2130:
	v_and_b32_e32 v5, 0x7fffffff, v1
	s_mov_b32 s4, exec_lo
                                        ; implicit-def: $vgpr2
	v_cmpx_gt_u32_e32 0x47800000, v5
	s_xor_b32 s4, exec_lo, s4
	s_cbranch_execz .LBB22_2136
; %bb.2131:
	s_mov_b32 s5, exec_lo
                                        ; implicit-def: $vgpr2
	v_cmpx_lt_u32_e32 0x387fffff, v5
	s_xor_b32 s5, exec_lo, s5
; %bb.2132:
	v_bfe_u32 v2, v1, 21, 1
	v_add3_u32 v2, v1, v2, 0x80fffff
	v_lshrrev_b32_e32 v2, 21, v2
; %bb.2133:
	s_andn2_saveexec_b32 s5, s5
; %bb.2134:
	v_add_f32_e64 v2, 0x43000000, |v1|
; %bb.2135:
	s_or_b32 exec_lo, exec_lo, s5
                                        ; implicit-def: $vgpr5
.LBB22_2136:
	s_andn2_saveexec_b32 s4, s4
; %bb.2137:
	v_mov_b32_e32 v2, 0x7f
	v_cmp_lt_u32_e32 vcc_lo, 0x7f800000, v5
	v_cndmask_b32_e32 v2, 0x7c, v2, vcc_lo
; %bb.2138:
	s_or_b32 exec_lo, exec_lo, s4
	v_lshrrev_b32_e32 v5, 24, v1
	v_and_or_b32 v2, 0x80, v5, v2
	global_store_byte v[3:4], v2, off
.LBB22_2139:
	s_mov_b32 s4, 0
	s_mov_b32 s5, -1
.LBB22_2140:
	s_andn2_b32 vcc_lo, exec_lo, s4
	s_mov_b32 s4, 0
	s_cbranch_vccnz .LBB22_2147
; %bb.2141:
	s_cmp_gt_i32 s2, 14
	s_mov_b32 s4, -1
	s_cbranch_scc0 .LBB22_2145
; %bb.2142:
	s_cmp_eq_u32 s2, 15
	s_mov_b32 s0, -1
	s_cbranch_scc0 .LBB22_2144
; %bb.2143:
	v_bfe_u32 v2, v1, 16, 1
	v_cmp_o_f32_e32 vcc_lo, v1, v1
	v_mov_b32_e32 v5, 0x7fc0
	s_mov_b32 s0, 0
	s_mov_b32 s5, -1
	v_add3_u32 v2, v1, v2, 0x7fff
	v_cndmask_b32_sdwa v2, v5, v2, vcc_lo dst_sel:DWORD dst_unused:UNUSED_PAD src0_sel:DWORD src1_sel:WORD_1
	global_store_short v[3:4], v2, off
.LBB22_2144:
	s_mov_b32 s4, 0
.LBB22_2145:
	s_and_b32 vcc_lo, exec_lo, s4
	s_mov_b32 s4, 0
	s_cbranch_vccz .LBB22_2147
; %bb.2146:
	s_cmp_lg_u32 s2, 11
	s_mov_b32 s4, -1
	s_cselect_b32 s0, -1, 0
.LBB22_2147:
	s_and_b32 vcc_lo, exec_lo, s0
	s_cbranch_vccnz .LBB22_2283
; %bb.2148:
	s_andn2_b32 vcc_lo, exec_lo, s4
	s_cbranch_vccnz .LBB22_2150
.LBB22_2149:
	v_cmp_neq_f32_e32 vcc_lo, 0, v1
	s_mov_b32 s5, -1
	v_cndmask_b32_e64 v2, 0, 1, vcc_lo
	global_store_byte v[3:4], v2, off
.LBB22_2150:
	s_mov_b32 s0, 0
	s_branch .LBB22_2152
.LBB22_2151:
	s_mov_b32 s0, -1
	s_mov_b32 s5, 0
.LBB22_2152:
	s_and_b32 vcc_lo, exec_lo, s0
	s_cbranch_vccz .LBB22_2191
; %bb.2153:
	s_and_b32 s0, 0xffff, s1
	s_mov_b32 s2, -1
	s_cmp_lt_i32 s0, 5
	s_cbranch_scc1 .LBB22_2174
; %bb.2154:
	s_cmp_lt_i32 s0, 8
	s_cbranch_scc1 .LBB22_2164
; %bb.2155:
	;; [unrolled: 3-line block ×3, first 2 shown]
	s_cmp_gt_i32 s0, 9
	s_cbranch_scc0 .LBB22_2158
; %bb.2157:
	v_cvt_f64_f32_e32 v[8:9], v1
	v_mov_b32_e32 v10, 0
	s_mov_b32 s2, 0
	v_mov_b32_e32 v11, v10
	global_store_dwordx4 v[3:4], v[8:11], off
.LBB22_2158:
	s_andn2_b32 vcc_lo, exec_lo, s2
	s_cbranch_vccnz .LBB22_2160
; %bb.2159:
	v_mov_b32_e32 v2, 0
	global_store_dwordx2 v[3:4], v[1:2], off
.LBB22_2160:
	s_mov_b32 s2, 0
.LBB22_2161:
	s_andn2_b32 vcc_lo, exec_lo, s2
	s_cbranch_vccnz .LBB22_2163
; %bb.2162:
	v_cvt_f16_f32_e32 v2, v1
	v_and_b32_e32 v2, 0xffff, v2
	global_store_dword v[3:4], v2, off
.LBB22_2163:
	s_mov_b32 s2, 0
.LBB22_2164:
	s_andn2_b32 vcc_lo, exec_lo, s2
	s_cbranch_vccnz .LBB22_2173
; %bb.2165:
	s_cmp_lt_i32 s0, 6
	s_mov_b32 s2, -1
	s_cbranch_scc1 .LBB22_2171
; %bb.2166:
	s_cmp_gt_i32 s0, 6
	s_cbranch_scc0 .LBB22_2168
; %bb.2167:
	v_cvt_f64_f32_e32 v[5:6], v1
	s_mov_b32 s2, 0
	global_store_dwordx2 v[3:4], v[5:6], off
.LBB22_2168:
	s_andn2_b32 vcc_lo, exec_lo, s2
	s_cbranch_vccnz .LBB22_2170
; %bb.2169:
	global_store_dword v[3:4], v1, off
.LBB22_2170:
	s_mov_b32 s2, 0
.LBB22_2171:
	s_andn2_b32 vcc_lo, exec_lo, s2
	s_cbranch_vccnz .LBB22_2173
; %bb.2172:
	v_cvt_f16_f32_e32 v2, v1
	global_store_short v[3:4], v2, off
.LBB22_2173:
	s_mov_b32 s2, 0
.LBB22_2174:
	s_andn2_b32 vcc_lo, exec_lo, s2
	s_cbranch_vccnz .LBB22_2190
; %bb.2175:
	s_cmp_lt_i32 s0, 2
	s_mov_b32 s2, -1
	s_cbranch_scc1 .LBB22_2185
; %bb.2176:
	s_cmp_lt_i32 s0, 3
	s_cbranch_scc1 .LBB22_2182
; %bb.2177:
	s_cmp_gt_i32 s0, 3
	s_cbranch_scc0 .LBB22_2179
; %bb.2178:
	v_trunc_f32_e32 v2, v1
	s_mov_b32 s2, 0
	v_mul_f32_e64 v5, 0x2f800000, |v2|
	v_floor_f32_e32 v5, v5
	v_fma_f32 v6, 0xcf800000, v5, |v2|
	v_ashrrev_i32_e32 v2, 31, v2
	v_cvt_u32_f32_e32 v5, v5
	v_cvt_u32_f32_e32 v6, v6
	v_xor_b32_e32 v8, v5, v2
	v_xor_b32_e32 v6, v6, v2
	v_sub_co_u32 v5, vcc_lo, v6, v2
	v_sub_co_ci_u32_e64 v6, null, v8, v2, vcc_lo
	global_store_dwordx2 v[3:4], v[5:6], off
.LBB22_2179:
	s_andn2_b32 vcc_lo, exec_lo, s2
	s_cbranch_vccnz .LBB22_2181
; %bb.2180:
	v_cvt_i32_f32_e32 v2, v1
	global_store_dword v[3:4], v2, off
.LBB22_2181:
	s_mov_b32 s2, 0
.LBB22_2182:
	s_andn2_b32 vcc_lo, exec_lo, s2
	s_cbranch_vccnz .LBB22_2184
; %bb.2183:
	v_cvt_i32_f32_e32 v2, v1
	global_store_short v[3:4], v2, off
.LBB22_2184:
	s_mov_b32 s2, 0
.LBB22_2185:
	s_andn2_b32 vcc_lo, exec_lo, s2
	s_cbranch_vccnz .LBB22_2190
; %bb.2186:
	s_cmp_gt_i32 s0, 0
	s_mov_b32 s0, -1
	s_cbranch_scc0 .LBB22_2188
; %bb.2187:
	v_cvt_i32_f32_e32 v2, v1
	s_mov_b32 s0, 0
	global_store_byte v[3:4], v2, off
.LBB22_2188:
	s_andn2_b32 vcc_lo, exec_lo, s0
	s_cbranch_vccnz .LBB22_2190
; %bb.2189:
	v_trunc_f32_e32 v1, v1
	v_mul_f32_e64 v2, 0x2f800000, |v1|
	v_floor_f32_e32 v2, v2
	v_fma_f32 v2, 0xcf800000, v2, |v1|
	v_ashrrev_i32_e32 v1, 31, v1
	v_cvt_u32_f32_e32 v2, v2
	v_xor_b32_e32 v2, v2, v1
	v_sub_nc_u32_e32 v1, v2, v1
	global_store_byte v[3:4], v1, off
.LBB22_2190:
	s_mov_b32 s5, -1
.LBB22_2191:
	s_andn2_b32 vcc_lo, exec_lo, s5
	s_cbranch_vccnz .LBB22_2268
; %bb.2192:
	v_add_co_u32 v0, s0, s8, v0
	v_add_co_ci_u32_e64 v1, null, s9, 0, s0
	s_cmp_lt_i32 s1, 11
	s_cbranch_scc1 .LBB22_2269
; %bb.2193:
	s_and_b32 s2, 0xffff, s1
	s_mov_b32 s5, -1
	s_mov_b32 s4, 0
	s_cmp_gt_i32 s2, 25
	s_mov_b32 s0, 0
	s_cbranch_scc0 .LBB22_2226
; %bb.2194:
	s_cmp_gt_i32 s2, 28
	s_cbranch_scc0 .LBB22_2210
; %bb.2195:
	s_cmp_gt_i32 s2, 43
	;; [unrolled: 3-line block ×3, first 2 shown]
	s_cbranch_scc0 .LBB22_2200
; %bb.2197:
	s_cmp_eq_u32 s2, 46
	s_mov_b32 s0, -1
	s_cbranch_scc0 .LBB22_2199
; %bb.2198:
	v_bfe_u32 v2, v7, 16, 1
	v_cmp_o_f32_e32 vcc_lo, v7, v7
	v_mov_b32_e32 v3, 0x7fc0
	s_mov_b32 s0, 0
	v_add3_u32 v2, v7, v2, 0x7fff
	v_cndmask_b32_sdwa v2, v3, v2, vcc_lo dst_sel:DWORD dst_unused:UNUSED_PAD src0_sel:DWORD src1_sel:WORD_1
	global_store_dword v[0:1], v2, off
.LBB22_2199:
	s_mov_b32 s5, 0
.LBB22_2200:
	s_and_b32 vcc_lo, exec_lo, s5
	s_cbranch_vccz .LBB22_2205
; %bb.2201:
	s_cmp_eq_u32 s2, 44
	s_mov_b32 s0, -1
	s_cbranch_scc0 .LBB22_2205
; %bb.2202:
	v_bfe_u32 v3, v7, 23, 8
	v_mov_b32_e32 v2, 0xff
	s_mov_b32 s5, exec_lo
	v_cmpx_ne_u32_e32 0xff, v3
	s_cbranch_execz .LBB22_2204
; %bb.2203:
	v_and_b32_e32 v2, 0x400000, v7
	v_and_or_b32 v3, 0x3fffff, v7, v3
	v_cmp_ne_u32_e32 vcc_lo, 0, v2
	v_cmp_ne_u32_e64 s0, 0, v3
	v_lshrrev_b32_e32 v2, 23, v7
	s_and_b32 s0, vcc_lo, s0
	v_cndmask_b32_e64 v3, 0, 1, s0
	v_add_nc_u32_e32 v2, v2, v3
.LBB22_2204:
	s_or_b32 exec_lo, exec_lo, s5
	s_mov_b32 s0, 0
	global_store_byte v[0:1], v2, off
.LBB22_2205:
	s_mov_b32 s5, 0
.LBB22_2206:
	s_and_b32 vcc_lo, exec_lo, s5
	s_cbranch_vccz .LBB22_2209
; %bb.2207:
	s_cmp_eq_u32 s2, 29
	s_mov_b32 s0, -1
	s_cbranch_scc0 .LBB22_2209
; %bb.2208:
	v_trunc_f32_e32 v2, v7
	s_mov_b32 s0, 0
	v_mul_f32_e32 v3, 0x2f800000, v2
	v_floor_f32_e32 v3, v3
	v_fmamk_f32 v2, v3, 0xcf800000, v2
	v_cvt_u32_f32_e32 v3, v3
	v_cvt_u32_f32_e32 v2, v2
	global_store_dwordx2 v[0:1], v[2:3], off
.LBB22_2209:
	s_mov_b32 s5, 0
.LBB22_2210:
	s_and_b32 vcc_lo, exec_lo, s5
	s_cbranch_vccz .LBB22_2225
; %bb.2211:
	s_cmp_lt_i32 s2, 27
	s_mov_b32 s5, -1
	s_cbranch_scc1 .LBB22_2217
; %bb.2212:
	s_cmp_gt_i32 s2, 27
	s_cbranch_scc0 .LBB22_2214
; %bb.2213:
	v_cvt_u32_f32_e32 v2, v7
	s_mov_b32 s5, 0
	global_store_dword v[0:1], v2, off
.LBB22_2214:
	s_andn2_b32 vcc_lo, exec_lo, s5
	s_cbranch_vccnz .LBB22_2216
; %bb.2215:
	v_cvt_u32_f32_e32 v2, v7
	global_store_short v[0:1], v2, off
.LBB22_2216:
	s_mov_b32 s5, 0
.LBB22_2217:
	s_andn2_b32 vcc_lo, exec_lo, s5
	s_cbranch_vccnz .LBB22_2225
; %bb.2218:
	v_and_b32_e32 v2, 0x7fffffff, v7
	v_mov_b32_e32 v3, 0x80
	s_mov_b32 s5, exec_lo
	v_cmpx_gt_u32_e32 0x43800000, v2
	s_cbranch_execz .LBB22_2224
; %bb.2219:
	v_cmp_lt_u32_e32 vcc_lo, 0x3bffffff, v2
	s_mov_b32 s6, 0
                                        ; implicit-def: $vgpr2
	s_and_saveexec_b32 s7, vcc_lo
	s_xor_b32 s7, exec_lo, s7
	s_cbranch_execz .LBB22_2286
; %bb.2220:
	v_bfe_u32 v2, v7, 20, 1
	s_mov_b32 s6, exec_lo
	v_add3_u32 v2, v7, v2, 0x487ffff
	v_lshrrev_b32_e32 v2, 20, v2
	s_andn2_saveexec_b32 s7, s7
	s_cbranch_execnz .LBB22_2287
.LBB22_2221:
	s_or_b32 exec_lo, exec_lo, s7
	v_mov_b32_e32 v3, 0
	s_and_saveexec_b32 s7, s6
.LBB22_2222:
	v_lshrrev_b32_e32 v3, 24, v7
	v_and_or_b32 v3, 0x80, v3, v2
.LBB22_2223:
	s_or_b32 exec_lo, exec_lo, s7
.LBB22_2224:
	s_or_b32 exec_lo, exec_lo, s5
	global_store_byte v[0:1], v3, off
.LBB22_2225:
	s_mov_b32 s5, 0
.LBB22_2226:
	s_and_b32 vcc_lo, exec_lo, s5
	s_cbranch_vccz .LBB22_2266
; %bb.2227:
	s_cmp_gt_i32 s2, 22
	s_mov_b32 s4, -1
	s_cbranch_scc0 .LBB22_2259
; %bb.2228:
	s_cmp_lt_i32 s2, 24
	s_cbranch_scc1 .LBB22_2248
; %bb.2229:
	s_cmp_gt_i32 s2, 24
	s_cbranch_scc0 .LBB22_2237
; %bb.2230:
	v_and_b32_e32 v2, 0x7fffffff, v7
	v_mov_b32_e32 v3, 0x80
	s_mov_b32 s4, exec_lo
	v_cmpx_gt_u32_e32 0x47800000, v2
	s_cbranch_execz .LBB22_2236
; %bb.2231:
	v_cmp_lt_u32_e32 vcc_lo, 0x37ffffff, v2
	s_mov_b32 s5, 0
                                        ; implicit-def: $vgpr2
	s_and_saveexec_b32 s6, vcc_lo
	s_xor_b32 s6, exec_lo, s6
	s_cbranch_execz .LBB22_2289
; %bb.2232:
	v_bfe_u32 v2, v7, 21, 1
	s_mov_b32 s5, exec_lo
	v_add3_u32 v2, v7, v2, 0x88fffff
	v_lshrrev_b32_e32 v2, 21, v2
	s_andn2_saveexec_b32 s6, s6
	s_cbranch_execnz .LBB22_2290
.LBB22_2233:
	s_or_b32 exec_lo, exec_lo, s6
	v_mov_b32_e32 v3, 0
	s_and_saveexec_b32 s6, s5
.LBB22_2234:
	v_lshrrev_b32_e32 v3, 24, v7
	v_and_or_b32 v3, 0x80, v3, v2
.LBB22_2235:
	s_or_b32 exec_lo, exec_lo, s6
.LBB22_2236:
	s_or_b32 exec_lo, exec_lo, s4
	s_mov_b32 s4, 0
	global_store_byte v[0:1], v3, off
.LBB22_2237:
	s_and_b32 vcc_lo, exec_lo, s4
	s_cbranch_vccz .LBB22_2247
; %bb.2238:
	v_and_b32_e32 v3, 0x7fffffff, v7
	s_mov_b32 s4, exec_lo
                                        ; implicit-def: $vgpr2
	v_cmpx_gt_u32_e32 0x43f00000, v3
	s_xor_b32 s4, exec_lo, s4
	s_cbranch_execz .LBB22_2244
; %bb.2239:
	s_mov_b32 s5, exec_lo
                                        ; implicit-def: $vgpr2
	v_cmpx_lt_u32_e32 0x3c7fffff, v3
	s_xor_b32 s5, exec_lo, s5
; %bb.2240:
	v_bfe_u32 v2, v7, 20, 1
	v_add3_u32 v2, v7, v2, 0x407ffff
	v_and_b32_e32 v3, 0xff00000, v2
	v_lshrrev_b32_e32 v2, 20, v2
	v_cmp_ne_u32_e32 vcc_lo, 0x7f00000, v3
	v_cndmask_b32_e32 v2, 0x7e, v2, vcc_lo
; %bb.2241:
	s_andn2_saveexec_b32 s5, s5
; %bb.2242:
	v_add_f32_e64 v2, 0x46800000, |v7|
; %bb.2243:
	s_or_b32 exec_lo, exec_lo, s5
                                        ; implicit-def: $vgpr3
.LBB22_2244:
	s_andn2_saveexec_b32 s4, s4
; %bb.2245:
	v_mov_b32_e32 v2, 0x7f
	v_cmp_lt_u32_e32 vcc_lo, 0x7f800000, v3
	v_cndmask_b32_e32 v2, 0x7e, v2, vcc_lo
; %bb.2246:
	s_or_b32 exec_lo, exec_lo, s4
	v_lshrrev_b32_e32 v3, 24, v7
	v_and_or_b32 v2, 0x80, v3, v2
	global_store_byte v[0:1], v2, off
.LBB22_2247:
	s_mov_b32 s4, 0
.LBB22_2248:
	s_andn2_b32 vcc_lo, exec_lo, s4
	s_cbranch_vccnz .LBB22_2258
; %bb.2249:
	v_and_b32_e32 v3, 0x7fffffff, v7
	s_mov_b32 s4, exec_lo
                                        ; implicit-def: $vgpr2
	v_cmpx_gt_u32_e32 0x47800000, v3
	s_xor_b32 s4, exec_lo, s4
	s_cbranch_execz .LBB22_2255
; %bb.2250:
	s_mov_b32 s5, exec_lo
                                        ; implicit-def: $vgpr2
	v_cmpx_lt_u32_e32 0x387fffff, v3
	s_xor_b32 s5, exec_lo, s5
; %bb.2251:
	v_bfe_u32 v2, v7, 21, 1
	v_add3_u32 v2, v7, v2, 0x80fffff
	v_lshrrev_b32_e32 v2, 21, v2
; %bb.2252:
	s_andn2_saveexec_b32 s5, s5
; %bb.2253:
	v_add_f32_e64 v2, 0x43000000, |v7|
; %bb.2254:
	s_or_b32 exec_lo, exec_lo, s5
                                        ; implicit-def: $vgpr3
.LBB22_2255:
	s_andn2_saveexec_b32 s4, s4
; %bb.2256:
	v_mov_b32_e32 v2, 0x7f
	v_cmp_lt_u32_e32 vcc_lo, 0x7f800000, v3
	v_cndmask_b32_e32 v2, 0x7c, v2, vcc_lo
; %bb.2257:
	s_or_b32 exec_lo, exec_lo, s4
	v_lshrrev_b32_e32 v3, 24, v7
	v_and_or_b32 v2, 0x80, v3, v2
	global_store_byte v[0:1], v2, off
.LBB22_2258:
	s_mov_b32 s4, 0
.LBB22_2259:
	s_andn2_b32 vcc_lo, exec_lo, s4
	s_mov_b32 s4, 0
	s_cbranch_vccnz .LBB22_2266
; %bb.2260:
	s_cmp_gt_i32 s2, 14
	s_mov_b32 s4, -1
	s_cbranch_scc0 .LBB22_2264
; %bb.2261:
	s_cmp_eq_u32 s2, 15
	s_mov_b32 s0, -1
	s_cbranch_scc0 .LBB22_2263
; %bb.2262:
	v_bfe_u32 v2, v7, 16, 1
	v_cmp_o_f32_e32 vcc_lo, v7, v7
	v_mov_b32_e32 v3, 0x7fc0
	s_mov_b32 s0, 0
	v_add3_u32 v2, v7, v2, 0x7fff
	v_cndmask_b32_sdwa v2, v3, v2, vcc_lo dst_sel:DWORD dst_unused:UNUSED_PAD src0_sel:DWORD src1_sel:WORD_1
	global_store_short v[0:1], v2, off
.LBB22_2263:
	s_mov_b32 s4, 0
.LBB22_2264:
	s_and_b32 vcc_lo, exec_lo, s4
	s_mov_b32 s4, 0
	s_cbranch_vccz .LBB22_2266
; %bb.2265:
	s_cmp_lg_u32 s2, 11
	s_mov_b32 s4, -1
	s_cselect_b32 s0, -1, 0
.LBB22_2266:
	s_and_b32 vcc_lo, exec_lo, s0
	s_cbranch_vccnz .LBB22_2288
.LBB22_2267:
	s_mov_b32 s0, 0
	s_branch .LBB22_1784
.LBB22_2268:
	s_mov_b32 s0, 0
	s_mov_b32 s4, 0
                                        ; implicit-def: $vgpr0_vgpr1
                                        ; implicit-def: $sgpr1
	s_branch .LBB22_1784
.LBB22_2269:
	s_mov_b32 s4, 0
	s_mov_b32 s0, -1
	s_branch .LBB22_1784
.LBB22_2270:
	s_or_b32 s3, s3, exec_lo
	s_trap 2
	s_cbranch_execz .LBB22_1722
	s_branch .LBB22_1723
.LBB22_2271:
	s_andn2_saveexec_b32 s10, s10
	s_cbranch_execz .LBB22_1863
.LBB22_2272:
	v_add_f32_e64 v6, 0x46000000, |v5|
	s_andn2_b32 s7, s7, exec_lo
	v_and_b32_e32 v6, 0xff, v6
	v_cmp_ne_u32_e32 vcc_lo, 0, v6
	s_and_b32 s11, vcc_lo, exec_lo
	s_or_b32 s7, s7, s11
	s_or_b32 exec_lo, exec_lo, s10
	v_mov_b32_e32 v10, 0
	s_and_saveexec_b32 s10, s7
	s_cbranch_execnz .LBB22_1864
	s_branch .LBB22_1865
.LBB22_2273:
	s_or_b32 s3, s3, exec_lo
	s_trap 2
	s_cbranch_execz .LBB22_1911
	s_branch .LBB22_1912
.LBB22_2274:
	s_andn2_saveexec_b32 s7, s7
	s_cbranch_execz .LBB22_1876
.LBB22_2275:
	v_add_f32_e64 v6, 0x42800000, |v5|
	s_andn2_b32 s6, s6, exec_lo
	v_and_b32_e32 v6, 0xff, v6
	v_cmp_ne_u32_e32 vcc_lo, 0, v6
	s_and_b32 s10, vcc_lo, exec_lo
	s_or_b32 s6, s6, s10
	s_or_b32 exec_lo, exec_lo, s7
	v_mov_b32_e32 v10, 0
	s_and_saveexec_b32 s7, s6
	s_cbranch_execnz .LBB22_1877
	s_branch .LBB22_1878
.LBB22_2276:
	s_andn2_saveexec_b32 s7, s7
	s_cbranch_execz .LBB22_1982
.LBB22_2277:
	v_add_f32_e64 v4, 0x46000000, |v3|
	s_andn2_b32 s6, s6, exec_lo
	v_and_b32_e32 v4, 0xff, v4
	v_cmp_ne_u32_e32 vcc_lo, 0, v4
	s_and_b32 s10, vcc_lo, exec_lo
	s_or_b32 s6, s6, s10
	s_or_b32 exec_lo, exec_lo, s7
	v_mov_b32_e32 v8, 0
	s_and_saveexec_b32 s7, s6
	s_cbranch_execnz .LBB22_1983
	s_branch .LBB22_1984
.LBB22_2278:
	s_or_b32 s3, s3, exec_lo
	s_trap 2
	s_cbranch_execz .LBB22_2030
	s_branch .LBB22_2031
.LBB22_2279:
	s_andn2_saveexec_b32 s6, s6
	s_cbranch_execz .LBB22_1995
.LBB22_2280:
	v_add_f32_e64 v4, 0x42800000, |v3|
	s_andn2_b32 s5, s5, exec_lo
	v_and_b32_e32 v4, 0xff, v4
	v_cmp_ne_u32_e32 vcc_lo, 0, v4
	s_and_b32 s7, vcc_lo, exec_lo
	s_or_b32 s5, s5, s7
	s_or_b32 exec_lo, exec_lo, s6
	v_mov_b32_e32 v8, 0
	s_and_saveexec_b32 s6, s5
	s_cbranch_execnz .LBB22_1996
	s_branch .LBB22_1997
.LBB22_2281:
	s_andn2_saveexec_b32 s7, s7
	s_cbranch_execz .LBB22_2101
.LBB22_2282:
	v_add_f32_e64 v2, 0x46000000, |v1|
	s_andn2_b32 s6, s6, exec_lo
	v_and_b32_e32 v2, 0xff, v2
	v_cmp_ne_u32_e32 vcc_lo, 0, v2
	s_and_b32 s10, vcc_lo, exec_lo
	s_or_b32 s6, s6, s10
	s_or_b32 exec_lo, exec_lo, s7
	v_mov_b32_e32 v5, 0
	s_and_saveexec_b32 s7, s6
	s_cbranch_execnz .LBB22_2102
	s_branch .LBB22_2103
.LBB22_2283:
	s_or_b32 s3, s3, exec_lo
	s_trap 2
	s_cbranch_execz .LBB22_2149
	s_branch .LBB22_2150
.LBB22_2284:
	s_andn2_saveexec_b32 s6, s6
	s_cbranch_execz .LBB22_2114
.LBB22_2285:
	v_add_f32_e64 v2, 0x42800000, |v1|
	s_andn2_b32 s5, s5, exec_lo
	v_and_b32_e32 v2, 0xff, v2
	v_cmp_ne_u32_e32 vcc_lo, 0, v2
	s_and_b32 s7, vcc_lo, exec_lo
	s_or_b32 s5, s5, s7
	s_or_b32 exec_lo, exec_lo, s6
	v_mov_b32_e32 v5, 0
	s_and_saveexec_b32 s6, s5
	s_cbranch_execnz .LBB22_2115
	s_branch .LBB22_2116
.LBB22_2286:
	s_andn2_saveexec_b32 s7, s7
	s_cbranch_execz .LBB22_2221
.LBB22_2287:
	v_add_f32_e64 v2, 0x46000000, |v7|
	s_andn2_b32 s6, s6, exec_lo
	v_and_b32_e32 v2, 0xff, v2
	v_cmp_ne_u32_e32 vcc_lo, 0, v2
	s_and_b32 s8, vcc_lo, exec_lo
	s_or_b32 s6, s6, s8
	s_or_b32 exec_lo, exec_lo, s7
	v_mov_b32_e32 v3, 0
	s_and_saveexec_b32 s7, s6
	s_cbranch_execnz .LBB22_2222
	s_branch .LBB22_2223
.LBB22_2288:
	s_mov_b32 s4, 0
	s_or_b32 s3, s3, exec_lo
	s_trap 2
	s_branch .LBB22_2267
.LBB22_2289:
	s_andn2_saveexec_b32 s6, s6
	s_cbranch_execz .LBB22_2233
.LBB22_2290:
	v_add_f32_e64 v2, 0x42800000, |v7|
	s_andn2_b32 s5, s5, exec_lo
	v_and_b32_e32 v2, 0xff, v2
	v_cmp_ne_u32_e32 vcc_lo, 0, v2
	s_and_b32 s7, vcc_lo, exec_lo
	s_or_b32 s5, s5, s7
	s_or_b32 exec_lo, exec_lo, s6
	v_mov_b32_e32 v3, 0
	s_and_saveexec_b32 s6, s5
	s_cbranch_execnz .LBB22_2234
	s_branch .LBB22_2235
	.section	.rodata,"a",@progbits
	.p2align	6, 0x0
	.amdhsa_kernel _ZN2at6native32elementwise_kernel_manual_unrollILi128ELi4EZNS0_15gpu_kernel_implIZZZNS0_12_GLOBAL__N_121bessel_y1_kernel_cudaERNS_18TensorIteratorBaseEENKUlvE_clEvENKUlvE0_clEvEUlfE_EEvS5_RKT_EUlibE0_EEviT1_
		.amdhsa_group_segment_fixed_size 0
		.amdhsa_private_segment_fixed_size 0
		.amdhsa_kernarg_size 360
		.amdhsa_user_sgpr_count 6
		.amdhsa_user_sgpr_private_segment_buffer 1
		.amdhsa_user_sgpr_dispatch_ptr 0
		.amdhsa_user_sgpr_queue_ptr 0
		.amdhsa_user_sgpr_kernarg_segment_ptr 1
		.amdhsa_user_sgpr_dispatch_id 0
		.amdhsa_user_sgpr_flat_scratch_init 0
		.amdhsa_user_sgpr_private_segment_size 0
		.amdhsa_wavefront_size32 1
		.amdhsa_uses_dynamic_stack 0
		.amdhsa_system_sgpr_private_segment_wavefront_offset 0
		.amdhsa_system_sgpr_workgroup_id_x 1
		.amdhsa_system_sgpr_workgroup_id_y 0
		.amdhsa_system_sgpr_workgroup_id_z 0
		.amdhsa_system_sgpr_workgroup_info 0
		.amdhsa_system_vgpr_workitem_id 0
		.amdhsa_next_free_vgpr 36
		.amdhsa_next_free_sgpr 68
		.amdhsa_reserve_vcc 1
		.amdhsa_reserve_flat_scratch 0
		.amdhsa_float_round_mode_32 0
		.amdhsa_float_round_mode_16_64 0
		.amdhsa_float_denorm_mode_32 3
		.amdhsa_float_denorm_mode_16_64 3
		.amdhsa_dx10_clamp 1
		.amdhsa_ieee_mode 1
		.amdhsa_fp16_overflow 0
		.amdhsa_workgroup_processor_mode 1
		.amdhsa_memory_ordered 1
		.amdhsa_forward_progress 1
		.amdhsa_shared_vgpr_count 0
		.amdhsa_exception_fp_ieee_invalid_op 0
		.amdhsa_exception_fp_denorm_src 0
		.amdhsa_exception_fp_ieee_div_zero 0
		.amdhsa_exception_fp_ieee_overflow 0
		.amdhsa_exception_fp_ieee_underflow 0
		.amdhsa_exception_fp_ieee_inexact 0
		.amdhsa_exception_int_div_zero 0
	.end_amdhsa_kernel
	.section	.text._ZN2at6native32elementwise_kernel_manual_unrollILi128ELi4EZNS0_15gpu_kernel_implIZZZNS0_12_GLOBAL__N_121bessel_y1_kernel_cudaERNS_18TensorIteratorBaseEENKUlvE_clEvENKUlvE0_clEvEUlfE_EEvS5_RKT_EUlibE0_EEviT1_,"axG",@progbits,_ZN2at6native32elementwise_kernel_manual_unrollILi128ELi4EZNS0_15gpu_kernel_implIZZZNS0_12_GLOBAL__N_121bessel_y1_kernel_cudaERNS_18TensorIteratorBaseEENKUlvE_clEvENKUlvE0_clEvEUlfE_EEvS5_RKT_EUlibE0_EEviT1_,comdat
.Lfunc_end22:
	.size	_ZN2at6native32elementwise_kernel_manual_unrollILi128ELi4EZNS0_15gpu_kernel_implIZZZNS0_12_GLOBAL__N_121bessel_y1_kernel_cudaERNS_18TensorIteratorBaseEENKUlvE_clEvENKUlvE0_clEvEUlfE_EEvS5_RKT_EUlibE0_EEviT1_, .Lfunc_end22-_ZN2at6native32elementwise_kernel_manual_unrollILi128ELi4EZNS0_15gpu_kernel_implIZZZNS0_12_GLOBAL__N_121bessel_y1_kernel_cudaERNS_18TensorIteratorBaseEENKUlvE_clEvENKUlvE0_clEvEUlfE_EEvS5_RKT_EUlibE0_EEviT1_
                                        ; -- End function
	.set _ZN2at6native32elementwise_kernel_manual_unrollILi128ELi4EZNS0_15gpu_kernel_implIZZZNS0_12_GLOBAL__N_121bessel_y1_kernel_cudaERNS_18TensorIteratorBaseEENKUlvE_clEvENKUlvE0_clEvEUlfE_EEvS5_RKT_EUlibE0_EEviT1_.num_vgpr, 36
	.set _ZN2at6native32elementwise_kernel_manual_unrollILi128ELi4EZNS0_15gpu_kernel_implIZZZNS0_12_GLOBAL__N_121bessel_y1_kernel_cudaERNS_18TensorIteratorBaseEENKUlvE_clEvENKUlvE0_clEvEUlfE_EEvS5_RKT_EUlibE0_EEviT1_.num_agpr, 0
	.set _ZN2at6native32elementwise_kernel_manual_unrollILi128ELi4EZNS0_15gpu_kernel_implIZZZNS0_12_GLOBAL__N_121bessel_y1_kernel_cudaERNS_18TensorIteratorBaseEENKUlvE_clEvENKUlvE0_clEvEUlfE_EEvS5_RKT_EUlibE0_EEviT1_.numbered_sgpr, 68
	.set _ZN2at6native32elementwise_kernel_manual_unrollILi128ELi4EZNS0_15gpu_kernel_implIZZZNS0_12_GLOBAL__N_121bessel_y1_kernel_cudaERNS_18TensorIteratorBaseEENKUlvE_clEvENKUlvE0_clEvEUlfE_EEvS5_RKT_EUlibE0_EEviT1_.num_named_barrier, 0
	.set _ZN2at6native32elementwise_kernel_manual_unrollILi128ELi4EZNS0_15gpu_kernel_implIZZZNS0_12_GLOBAL__N_121bessel_y1_kernel_cudaERNS_18TensorIteratorBaseEENKUlvE_clEvENKUlvE0_clEvEUlfE_EEvS5_RKT_EUlibE0_EEviT1_.private_seg_size, 0
	.set _ZN2at6native32elementwise_kernel_manual_unrollILi128ELi4EZNS0_15gpu_kernel_implIZZZNS0_12_GLOBAL__N_121bessel_y1_kernel_cudaERNS_18TensorIteratorBaseEENKUlvE_clEvENKUlvE0_clEvEUlfE_EEvS5_RKT_EUlibE0_EEviT1_.uses_vcc, 1
	.set _ZN2at6native32elementwise_kernel_manual_unrollILi128ELi4EZNS0_15gpu_kernel_implIZZZNS0_12_GLOBAL__N_121bessel_y1_kernel_cudaERNS_18TensorIteratorBaseEENKUlvE_clEvENKUlvE0_clEvEUlfE_EEvS5_RKT_EUlibE0_EEviT1_.uses_flat_scratch, 0
	.set _ZN2at6native32elementwise_kernel_manual_unrollILi128ELi4EZNS0_15gpu_kernel_implIZZZNS0_12_GLOBAL__N_121bessel_y1_kernel_cudaERNS_18TensorIteratorBaseEENKUlvE_clEvENKUlvE0_clEvEUlfE_EEvS5_RKT_EUlibE0_EEviT1_.has_dyn_sized_stack, 0
	.set _ZN2at6native32elementwise_kernel_manual_unrollILi128ELi4EZNS0_15gpu_kernel_implIZZZNS0_12_GLOBAL__N_121bessel_y1_kernel_cudaERNS_18TensorIteratorBaseEENKUlvE_clEvENKUlvE0_clEvEUlfE_EEvS5_RKT_EUlibE0_EEviT1_.has_recursion, 0
	.set _ZN2at6native32elementwise_kernel_manual_unrollILi128ELi4EZNS0_15gpu_kernel_implIZZZNS0_12_GLOBAL__N_121bessel_y1_kernel_cudaERNS_18TensorIteratorBaseEENKUlvE_clEvENKUlvE0_clEvEUlfE_EEvS5_RKT_EUlibE0_EEviT1_.has_indirect_call, 0
	.section	.AMDGPU.csdata,"",@progbits
; Kernel info:
; codeLenInByte = 60208
; TotalNumSgprs: 70
; NumVgprs: 36
; ScratchSize: 0
; MemoryBound: 1
; FloatMode: 240
; IeeeMode: 1
; LDSByteSize: 0 bytes/workgroup (compile time only)
; SGPRBlocks: 0
; VGPRBlocks: 4
; NumSGPRsForWavesPerEU: 70
; NumVGPRsForWavesPerEU: 36
; Occupancy: 16
; WaveLimiterHint : 1
; COMPUTE_PGM_RSRC2:SCRATCH_EN: 0
; COMPUTE_PGM_RSRC2:USER_SGPR: 6
; COMPUTE_PGM_RSRC2:TRAP_HANDLER: 0
; COMPUTE_PGM_RSRC2:TGID_X_EN: 1
; COMPUTE_PGM_RSRC2:TGID_Y_EN: 0
; COMPUTE_PGM_RSRC2:TGID_Z_EN: 0
; COMPUTE_PGM_RSRC2:TIDIG_COMP_CNT: 0
	.text
	.p2alignl 6, 3214868480
	.fill 48, 4, 3214868480
	.section	.AMDGPU.gpr_maximums,"",@progbits
	.set amdgpu.max_num_vgpr, 84
	.set amdgpu.max_num_agpr, 0
	.set amdgpu.max_num_sgpr, 43
	.text
	.type	__hip_cuid_5e5e74a51706fecc,@object ; @__hip_cuid_5e5e74a51706fecc
	.section	.bss,"aw",@nobits
	.globl	__hip_cuid_5e5e74a51706fecc
__hip_cuid_5e5e74a51706fecc:
	.byte	0                               ; 0x0
	.size	__hip_cuid_5e5e74a51706fecc, 1

	.ident	"AMD clang version 22.0.0git (https://github.com/RadeonOpenCompute/llvm-project roc-7.2.4 26084 f58b06dce1f9c15707c5f808fd002e18c2accf7e)"
	.section	".note.GNU-stack","",@progbits
	.addrsig
	.addrsig_sym __hip_cuid_5e5e74a51706fecc
	.amdgpu_metadata
---
amdhsa.kernels:
  - .args:
      - .offset:         0
        .size:           4
        .value_kind:     by_value
      - .offset:         4
        .size:           1
        .value_kind:     by_value
      - .offset:         8
        .size:           16
        .value_kind:     by_value
    .group_segment_fixed_size: 0
    .kernarg_segment_align: 8
    .kernarg_segment_size: 24
    .language:       OpenCL C
    .language_version:
      - 2
      - 0
    .max_flat_workgroup_size: 256
    .name:           _ZN2at6native29vectorized_elementwise_kernelILi16EZZZNS0_12_GLOBAL__N_121bessel_y1_kernel_cudaERNS_18TensorIteratorBaseEENKUlvE_clEvENKUlvE_clEvEUldE_St5arrayIPcLm2EEEEviT0_T1_
    .private_segment_fixed_size: 0
    .sgpr_count:     45
    .sgpr_spill_count: 0
    .symbol:         _ZN2at6native29vectorized_elementwise_kernelILi16EZZZNS0_12_GLOBAL__N_121bessel_y1_kernel_cudaERNS_18TensorIteratorBaseEENKUlvE_clEvENKUlvE_clEvEUldE_St5arrayIPcLm2EEEEviT0_T1_.kd
    .uniform_work_group_size: 1
    .uses_dynamic_stack: false
    .vgpr_count:     84
    .vgpr_spill_count: 0
    .wavefront_size: 32
    .workgroup_processor_mode: 1
  - .args:
      - .offset:         0
        .size:           4
        .value_kind:     by_value
      - .offset:         4
        .size:           1
        .value_kind:     by_value
      - .offset:         8
        .size:           16
        .value_kind:     by_value
    .group_segment_fixed_size: 0
    .kernarg_segment_align: 8
    .kernarg_segment_size: 24
    .language:       OpenCL C
    .language_version:
      - 2
      - 0
    .max_flat_workgroup_size: 256
    .name:           _ZN2at6native29vectorized_elementwise_kernelILi8EZZZNS0_12_GLOBAL__N_121bessel_y1_kernel_cudaERNS_18TensorIteratorBaseEENKUlvE_clEvENKUlvE_clEvEUldE_St5arrayIPcLm2EEEEviT0_T1_
    .private_segment_fixed_size: 0
    .sgpr_count:     45
    .sgpr_spill_count: 0
    .symbol:         _ZN2at6native29vectorized_elementwise_kernelILi8EZZZNS0_12_GLOBAL__N_121bessel_y1_kernel_cudaERNS_18TensorIteratorBaseEENKUlvE_clEvENKUlvE_clEvEUldE_St5arrayIPcLm2EEEEviT0_T1_.kd
    .uniform_work_group_size: 1
    .uses_dynamic_stack: false
    .vgpr_count:     84
    .vgpr_spill_count: 0
    .wavefront_size: 32
    .workgroup_processor_mode: 1
  - .args:
      - .offset:         0
        .size:           4
        .value_kind:     by_value
      - .offset:         4
        .size:           1
        .value_kind:     by_value
      - .offset:         8
        .size:           16
        .value_kind:     by_value
    .group_segment_fixed_size: 0
    .kernarg_segment_align: 8
    .kernarg_segment_size: 24
    .language:       OpenCL C
    .language_version:
      - 2
      - 0
    .max_flat_workgroup_size: 256
    .name:           _ZN2at6native29vectorized_elementwise_kernelILi4EZZZNS0_12_GLOBAL__N_121bessel_y1_kernel_cudaERNS_18TensorIteratorBaseEENKUlvE_clEvENKUlvE_clEvEUldE_St5arrayIPcLm2EEEEviT0_T1_
    .private_segment_fixed_size: 0
    .sgpr_count:     45
    .sgpr_spill_count: 0
    .symbol:         _ZN2at6native29vectorized_elementwise_kernelILi4EZZZNS0_12_GLOBAL__N_121bessel_y1_kernel_cudaERNS_18TensorIteratorBaseEENKUlvE_clEvENKUlvE_clEvEUldE_St5arrayIPcLm2EEEEviT0_T1_.kd
    .uniform_work_group_size: 1
    .uses_dynamic_stack: false
    .vgpr_count:     84
    .vgpr_spill_count: 0
    .wavefront_size: 32
    .workgroup_processor_mode: 1
  - .args:
      - .offset:         0
        .size:           4
        .value_kind:     by_value
      - .offset:         4
        .size:           1
        .value_kind:     by_value
      - .offset:         8
        .size:           16
        .value_kind:     by_value
    .group_segment_fixed_size: 0
    .kernarg_segment_align: 8
    .kernarg_segment_size: 24
    .language:       OpenCL C
    .language_version:
      - 2
      - 0
    .max_flat_workgroup_size: 256
    .name:           _ZN2at6native29vectorized_elementwise_kernelILi2EZZZNS0_12_GLOBAL__N_121bessel_y1_kernel_cudaERNS_18TensorIteratorBaseEENKUlvE_clEvENKUlvE_clEvEUldE_St5arrayIPcLm2EEEEviT0_T1_
    .private_segment_fixed_size: 0
    .sgpr_count:     45
    .sgpr_spill_count: 0
    .symbol:         _ZN2at6native29vectorized_elementwise_kernelILi2EZZZNS0_12_GLOBAL__N_121bessel_y1_kernel_cudaERNS_18TensorIteratorBaseEENKUlvE_clEvENKUlvE_clEvEUldE_St5arrayIPcLm2EEEEviT0_T1_.kd
    .uniform_work_group_size: 1
    .uses_dynamic_stack: false
    .vgpr_count:     84
    .vgpr_spill_count: 0
    .wavefront_size: 32
    .workgroup_processor_mode: 1
  - .args:
      - .offset:         0
        .size:           4
        .value_kind:     by_value
      - .offset:         4
        .size:           1
        .value_kind:     by_value
      - .offset:         8
        .size:           16
        .value_kind:     by_value
      - .offset:         24
        .size:           1
        .value_kind:     by_value
      - .offset:         25
        .size:           1
        .value_kind:     by_value
      - .offset:         26
        .size:           1
        .value_kind:     by_value
      - .offset:         27
        .size:           1
        .value_kind:     by_value
    .group_segment_fixed_size: 0
    .kernarg_segment_align: 8
    .kernarg_segment_size: 28
    .language:       OpenCL C
    .language_version:
      - 2
      - 0
    .max_flat_workgroup_size: 256
    .name:           _ZN2at6native27unrolled_elementwise_kernelIZZZNS0_12_GLOBAL__N_121bessel_y1_kernel_cudaERNS_18TensorIteratorBaseEENKUlvE_clEvENKUlvE_clEvEUldE_St5arrayIPcLm2EELi4E23TrivialOffsetCalculatorILi1EjESC_NS0_6memory15LoadWithoutCastENSD_16StoreWithoutCastEEEviT_T0_T2_T3_T4_T5_
    .private_segment_fixed_size: 0
    .sgpr_count:     45
    .sgpr_spill_count: 0
    .symbol:         _ZN2at6native27unrolled_elementwise_kernelIZZZNS0_12_GLOBAL__N_121bessel_y1_kernel_cudaERNS_18TensorIteratorBaseEENKUlvE_clEvENKUlvE_clEvEUldE_St5arrayIPcLm2EELi4E23TrivialOffsetCalculatorILi1EjESC_NS0_6memory15LoadWithoutCastENSD_16StoreWithoutCastEEEviT_T0_T2_T3_T4_T5_.kd
    .uniform_work_group_size: 1
    .uses_dynamic_stack: false
    .vgpr_count:     84
    .vgpr_spill_count: 0
    .wavefront_size: 32
    .workgroup_processor_mode: 1
  - .args:
      - .offset:         0
        .size:           4
        .value_kind:     by_value
      - .offset:         8
        .size:           352
        .value_kind:     by_value
    .group_segment_fixed_size: 0
    .kernarg_segment_align: 8
    .kernarg_segment_size: 360
    .language:       OpenCL C
    .language_version:
      - 2
      - 0
    .max_flat_workgroup_size: 128
    .name:           _ZN2at6native32elementwise_kernel_manual_unrollILi128ELi4EZNS0_22gpu_kernel_impl_nocastIZZZNS0_12_GLOBAL__N_121bessel_y1_kernel_cudaERNS_18TensorIteratorBaseEENKUlvE_clEvENKUlvE_clEvEUldE_EEvS5_RKT_EUlibE_EEviT1_
    .private_segment_fixed_size: 0
    .sgpr_count:     58
    .sgpr_spill_count: 0
    .symbol:         _ZN2at6native32elementwise_kernel_manual_unrollILi128ELi4EZNS0_22gpu_kernel_impl_nocastIZZZNS0_12_GLOBAL__N_121bessel_y1_kernel_cudaERNS_18TensorIteratorBaseEENKUlvE_clEvENKUlvE_clEvEUldE_EEvS5_RKT_EUlibE_EEviT1_.kd
    .uniform_work_group_size: 1
    .uses_dynamic_stack: false
    .vgpr_count:     86
    .vgpr_spill_count: 0
    .wavefront_size: 32
    .workgroup_processor_mode: 1
  - .args:
      - .offset:         0
        .size:           4
        .value_kind:     by_value
      - .offset:         8
        .size:           32
        .value_kind:     by_value
    .group_segment_fixed_size: 0
    .kernarg_segment_align: 8
    .kernarg_segment_size: 40
    .language:       OpenCL C
    .language_version:
      - 2
      - 0
    .max_flat_workgroup_size: 128
    .name:           _ZN2at6native32elementwise_kernel_manual_unrollILi128ELi4EZNS0_15gpu_kernel_implIZZZNS0_12_GLOBAL__N_121bessel_y1_kernel_cudaERNS_18TensorIteratorBaseEENKUlvE_clEvENKUlvE_clEvEUldE_EEvS5_RKT_EUlibE_EEviT1_
    .private_segment_fixed_size: 0
    .sgpr_count:     47
    .sgpr_spill_count: 0
    .symbol:         _ZN2at6native32elementwise_kernel_manual_unrollILi128ELi4EZNS0_15gpu_kernel_implIZZZNS0_12_GLOBAL__N_121bessel_y1_kernel_cudaERNS_18TensorIteratorBaseEENKUlvE_clEvENKUlvE_clEvEUldE_EEvS5_RKT_EUlibE_EEviT1_.kd
    .uniform_work_group_size: 1
    .uses_dynamic_stack: false
    .vgpr_count:     84
    .vgpr_spill_count: 0
    .wavefront_size: 32
    .workgroup_processor_mode: 1
  - .args:
      - .offset:         0
        .size:           4
        .value_kind:     by_value
      - .offset:         8
        .size:           352
        .value_kind:     by_value
    .group_segment_fixed_size: 0
    .kernarg_segment_align: 8
    .kernarg_segment_size: 360
    .language:       OpenCL C
    .language_version:
      - 2
      - 0
    .max_flat_workgroup_size: 128
    .name:           _ZN2at6native32elementwise_kernel_manual_unrollILi128ELi4EZNS0_15gpu_kernel_implIZZZNS0_12_GLOBAL__N_121bessel_y1_kernel_cudaERNS_18TensorIteratorBaseEENKUlvE_clEvENKUlvE_clEvEUldE_EEvS5_RKT_EUlibE0_EEviT1_
    .private_segment_fixed_size: 0
    .sgpr_count:     74
    .sgpr_spill_count: 0
    .symbol:         _ZN2at6native32elementwise_kernel_manual_unrollILi128ELi4EZNS0_15gpu_kernel_implIZZZNS0_12_GLOBAL__N_121bessel_y1_kernel_cudaERNS_18TensorIteratorBaseEENKUlvE_clEvENKUlvE_clEvEUldE_EEvS5_RKT_EUlibE0_EEviT1_.kd
    .uniform_work_group_size: 1
    .uses_dynamic_stack: false
    .vgpr_count:     84
    .vgpr_spill_count: 0
    .wavefront_size: 32
    .workgroup_processor_mode: 1
  - .args:
      - .offset:         0
        .size:           4
        .value_kind:     by_value
      - .offset:         4
        .size:           1
        .value_kind:     by_value
      - .offset:         8
        .size:           16
        .value_kind:     by_value
    .group_segment_fixed_size: 0
    .kernarg_segment_align: 8
    .kernarg_segment_size: 24
    .language:       OpenCL C
    .language_version:
      - 2
      - 0
    .max_flat_workgroup_size: 256
    .name:           _ZN2at6native29vectorized_elementwise_kernelILi16EZZZNS0_12_GLOBAL__N_121bessel_y1_kernel_cudaERNS_18TensorIteratorBaseEENKUlvE_clEvENKUlvE0_clEvEUlfE_St5arrayIPcLm2EEEEviT0_T1_
    .private_segment_fixed_size: 0
    .sgpr_count:     35
    .sgpr_spill_count: 0
    .symbol:         _ZN2at6native29vectorized_elementwise_kernelILi16EZZZNS0_12_GLOBAL__N_121bessel_y1_kernel_cudaERNS_18TensorIteratorBaseEENKUlvE_clEvENKUlvE0_clEvEUlfE_St5arrayIPcLm2EEEEviT0_T1_.kd
    .uniform_work_group_size: 1
    .uses_dynamic_stack: false
    .vgpr_count:     40
    .vgpr_spill_count: 0
    .wavefront_size: 32
    .workgroup_processor_mode: 1
  - .args:
      - .offset:         0
        .size:           4
        .value_kind:     by_value
      - .offset:         4
        .size:           1
        .value_kind:     by_value
      - .offset:         8
        .size:           16
        .value_kind:     by_value
    .group_segment_fixed_size: 0
    .kernarg_segment_align: 8
    .kernarg_segment_size: 24
    .language:       OpenCL C
    .language_version:
      - 2
      - 0
    .max_flat_workgroup_size: 256
    .name:           _ZN2at6native29vectorized_elementwise_kernelILi8EZZZNS0_12_GLOBAL__N_121bessel_y1_kernel_cudaERNS_18TensorIteratorBaseEENKUlvE_clEvENKUlvE0_clEvEUlfE_St5arrayIPcLm2EEEEviT0_T1_
    .private_segment_fixed_size: 0
    .sgpr_count:     35
    .sgpr_spill_count: 0
    .symbol:         _ZN2at6native29vectorized_elementwise_kernelILi8EZZZNS0_12_GLOBAL__N_121bessel_y1_kernel_cudaERNS_18TensorIteratorBaseEENKUlvE_clEvENKUlvE0_clEvEUlfE_St5arrayIPcLm2EEEEviT0_T1_.kd
    .uniform_work_group_size: 1
    .uses_dynamic_stack: false
    .vgpr_count:     40
    .vgpr_spill_count: 0
    .wavefront_size: 32
    .workgroup_processor_mode: 1
  - .args:
      - .offset:         0
        .size:           4
        .value_kind:     by_value
      - .offset:         4
        .size:           1
        .value_kind:     by_value
      - .offset:         8
        .size:           16
        .value_kind:     by_value
    .group_segment_fixed_size: 0
    .kernarg_segment_align: 8
    .kernarg_segment_size: 24
    .language:       OpenCL C
    .language_version:
      - 2
      - 0
    .max_flat_workgroup_size: 256
    .name:           _ZN2at6native29vectorized_elementwise_kernelILi4EZZZNS0_12_GLOBAL__N_121bessel_y1_kernel_cudaERNS_18TensorIteratorBaseEENKUlvE_clEvENKUlvE0_clEvEUlfE_St5arrayIPcLm2EEEEviT0_T1_
    .private_segment_fixed_size: 0
    .sgpr_count:     35
    .sgpr_spill_count: 0
    .symbol:         _ZN2at6native29vectorized_elementwise_kernelILi4EZZZNS0_12_GLOBAL__N_121bessel_y1_kernel_cudaERNS_18TensorIteratorBaseEENKUlvE_clEvENKUlvE0_clEvEUlfE_St5arrayIPcLm2EEEEviT0_T1_.kd
    .uniform_work_group_size: 1
    .uses_dynamic_stack: false
    .vgpr_count:     40
    .vgpr_spill_count: 0
    .wavefront_size: 32
    .workgroup_processor_mode: 1
  - .args:
      - .offset:         0
        .size:           4
        .value_kind:     by_value
      - .offset:         4
        .size:           1
        .value_kind:     by_value
      - .offset:         8
        .size:           16
        .value_kind:     by_value
    .group_segment_fixed_size: 0
    .kernarg_segment_align: 8
    .kernarg_segment_size: 24
    .language:       OpenCL C
    .language_version:
      - 2
      - 0
    .max_flat_workgroup_size: 256
    .name:           _ZN2at6native29vectorized_elementwise_kernelILi2EZZZNS0_12_GLOBAL__N_121bessel_y1_kernel_cudaERNS_18TensorIteratorBaseEENKUlvE_clEvENKUlvE0_clEvEUlfE_St5arrayIPcLm2EEEEviT0_T1_
    .private_segment_fixed_size: 0
    .sgpr_count:     35
    .sgpr_spill_count: 0
    .symbol:         _ZN2at6native29vectorized_elementwise_kernelILi2EZZZNS0_12_GLOBAL__N_121bessel_y1_kernel_cudaERNS_18TensorIteratorBaseEENKUlvE_clEvENKUlvE0_clEvEUlfE_St5arrayIPcLm2EEEEviT0_T1_.kd
    .uniform_work_group_size: 1
    .uses_dynamic_stack: false
    .vgpr_count:     40
    .vgpr_spill_count: 0
    .wavefront_size: 32
    .workgroup_processor_mode: 1
  - .args:
      - .offset:         0
        .size:           4
        .value_kind:     by_value
      - .offset:         4
        .size:           1
        .value_kind:     by_value
      - .offset:         8
        .size:           16
        .value_kind:     by_value
      - .offset:         24
        .size:           1
        .value_kind:     by_value
      - .offset:         25
        .size:           1
        .value_kind:     by_value
      - .offset:         26
        .size:           1
        .value_kind:     by_value
      - .offset:         27
        .size:           1
        .value_kind:     by_value
    .group_segment_fixed_size: 0
    .kernarg_segment_align: 8
    .kernarg_segment_size: 28
    .language:       OpenCL C
    .language_version:
      - 2
      - 0
    .max_flat_workgroup_size: 256
    .name:           _ZN2at6native27unrolled_elementwise_kernelIZZZNS0_12_GLOBAL__N_121bessel_y1_kernel_cudaERNS_18TensorIteratorBaseEENKUlvE_clEvENKUlvE0_clEvEUlfE_St5arrayIPcLm2EELi4E23TrivialOffsetCalculatorILi1EjESC_NS0_6memory15LoadWithoutCastENSD_16StoreWithoutCastEEEviT_T0_T2_T3_T4_T5_
    .private_segment_fixed_size: 0
    .sgpr_count:     35
    .sgpr_spill_count: 0
    .symbol:         _ZN2at6native27unrolled_elementwise_kernelIZZZNS0_12_GLOBAL__N_121bessel_y1_kernel_cudaERNS_18TensorIteratorBaseEENKUlvE_clEvENKUlvE0_clEvEUlfE_St5arrayIPcLm2EELi4E23TrivialOffsetCalculatorILi1EjESC_NS0_6memory15LoadWithoutCastENSD_16StoreWithoutCastEEEviT_T0_T2_T3_T4_T5_.kd
    .uniform_work_group_size: 1
    .uses_dynamic_stack: false
    .vgpr_count:     40
    .vgpr_spill_count: 0
    .wavefront_size: 32
    .workgroup_processor_mode: 1
  - .args:
      - .offset:         0
        .size:           4
        .value_kind:     by_value
      - .offset:         8
        .size:           352
        .value_kind:     by_value
    .group_segment_fixed_size: 0
    .kernarg_segment_align: 8
    .kernarg_segment_size: 360
    .language:       OpenCL C
    .language_version:
      - 2
      - 0
    .max_flat_workgroup_size: 128
    .name:           _ZN2at6native32elementwise_kernel_manual_unrollILi128ELi4EZNS0_22gpu_kernel_impl_nocastIZZZNS0_12_GLOBAL__N_121bessel_y1_kernel_cudaERNS_18TensorIteratorBaseEENKUlvE_clEvENKUlvE0_clEvEUlfE_EEvS5_RKT_EUlibE_EEviT1_
    .private_segment_fixed_size: 0
    .sgpr_count:     58
    .sgpr_spill_count: 0
    .symbol:         _ZN2at6native32elementwise_kernel_manual_unrollILi128ELi4EZNS0_22gpu_kernel_impl_nocastIZZZNS0_12_GLOBAL__N_121bessel_y1_kernel_cudaERNS_18TensorIteratorBaseEENKUlvE_clEvENKUlvE0_clEvEUlfE_EEvS5_RKT_EUlibE_EEviT1_.kd
    .uniform_work_group_size: 1
    .uses_dynamic_stack: false
    .vgpr_count:     36
    .vgpr_spill_count: 0
    .wavefront_size: 32
    .workgroup_processor_mode: 1
  - .args:
      - .offset:         0
        .size:           4
        .value_kind:     by_value
      - .offset:         8
        .size:           32
        .value_kind:     by_value
    .group_segment_fixed_size: 0
    .kernarg_segment_align: 8
    .kernarg_segment_size: 40
    .language:       OpenCL C
    .language_version:
      - 2
      - 0
    .max_flat_workgroup_size: 128
    .name:           _ZN2at6native32elementwise_kernel_manual_unrollILi128ELi4EZNS0_15gpu_kernel_implIZZZNS0_12_GLOBAL__N_121bessel_y1_kernel_cudaERNS_18TensorIteratorBaseEENKUlvE_clEvENKUlvE0_clEvEUlfE_EEvS5_RKT_EUlibE_EEviT1_
    .private_segment_fixed_size: 0
    .sgpr_count:     37
    .sgpr_spill_count: 0
    .symbol:         _ZN2at6native32elementwise_kernel_manual_unrollILi128ELi4EZNS0_15gpu_kernel_implIZZZNS0_12_GLOBAL__N_121bessel_y1_kernel_cudaERNS_18TensorIteratorBaseEENKUlvE_clEvENKUlvE0_clEvEUlfE_EEvS5_RKT_EUlibE_EEviT1_.kd
    .uniform_work_group_size: 1
    .uses_dynamic_stack: false
    .vgpr_count:     36
    .vgpr_spill_count: 0
    .wavefront_size: 32
    .workgroup_processor_mode: 1
  - .args:
      - .offset:         0
        .size:           4
        .value_kind:     by_value
      - .offset:         8
        .size:           352
        .value_kind:     by_value
    .group_segment_fixed_size: 0
    .kernarg_segment_align: 8
    .kernarg_segment_size: 360
    .language:       OpenCL C
    .language_version:
      - 2
      - 0
    .max_flat_workgroup_size: 128
    .name:           _ZN2at6native32elementwise_kernel_manual_unrollILi128ELi4EZNS0_15gpu_kernel_implIZZZNS0_12_GLOBAL__N_121bessel_y1_kernel_cudaERNS_18TensorIteratorBaseEENKUlvE_clEvENKUlvE0_clEvEUlfE_EEvS5_RKT_EUlibE0_EEviT1_
    .private_segment_fixed_size: 0
    .sgpr_count:     70
    .sgpr_spill_count: 0
    .symbol:         _ZN2at6native32elementwise_kernel_manual_unrollILi128ELi4EZNS0_15gpu_kernel_implIZZZNS0_12_GLOBAL__N_121bessel_y1_kernel_cudaERNS_18TensorIteratorBaseEENKUlvE_clEvENKUlvE0_clEvEUlfE_EEvS5_RKT_EUlibE0_EEviT1_.kd
    .uniform_work_group_size: 1
    .uses_dynamic_stack: false
    .vgpr_count:     36
    .vgpr_spill_count: 0
    .wavefront_size: 32
    .workgroup_processor_mode: 1
amdhsa.target:   amdgcn-amd-amdhsa--gfx1030
amdhsa.version:
  - 1
  - 2
...

	.end_amdgpu_metadata
